;; amdgpu-corpus repo=ROCm/rocFFT kind=compiled arch=gfx1201 opt=O3
	.text
	.amdgcn_target "amdgcn-amd-amdhsa--gfx1201"
	.amdhsa_code_object_version 6
	.protected	bluestein_single_back_len756_dim1_dp_op_CI_CI ; -- Begin function bluestein_single_back_len756_dim1_dp_op_CI_CI
	.globl	bluestein_single_back_len756_dim1_dp_op_CI_CI
	.p2align	8
	.type	bluestein_single_back_len756_dim1_dp_op_CI_CI,@function
bluestein_single_back_len756_dim1_dp_op_CI_CI: ; @bluestein_single_back_len756_dim1_dp_op_CI_CI
; %bb.0:
	s_load_b128 s[16:19], s[0:1], 0x28
	v_mul_u32_u24_e32 v1, 0x411, v0
	s_mov_b32 s2, exec_lo
	v_mov_b32_e32 v6, 0
	s_delay_alu instid0(VALU_DEP_2) | instskip(NEXT) | instid1(VALU_DEP_1)
	v_lshrrev_b32_e32 v1, 16, v1
	v_add_nc_u32_e32 v5, ttmp9, v1
	s_wait_kmcnt 0x0
	s_delay_alu instid0(VALU_DEP_1)
	v_cmpx_gt_u64_e64 s[16:17], v[5:6]
	s_cbranch_execz .LBB0_10
; %bb.1:
	s_clause 0x1
	s_load_b128 s[4:7], s[0:1], 0x18
	s_load_b128 s[8:11], s[0:1], 0x0
	v_mul_lo_u16 v1, v1, 63
                                        ; implicit-def: $vgpr220_vgpr221
                                        ; implicit-def: $vgpr224_vgpr225
	v_mov_b32_e32 v6, v5
	s_delay_alu instid0(VALU_DEP_2) | instskip(SKIP_2) | instid1(VALU_DEP_1)
	v_sub_nc_u16 v0, v0, v1
	scratch_store_b64 off, v[6:7], off      ; 8-byte Folded Spill
	v_and_b32_e32 v255, 0xffff, v0
	v_lshlrev_b32_e32 v232, 4, v255
	v_and_b32_e32 v124, 3, v255
	s_wait_kmcnt 0x0
	s_load_b128 s[12:15], s[4:5], 0x0
	s_movk_i32 s4, 0xec50
	s_mov_b32 s5, -1
	s_wait_kmcnt 0x0
	v_mad_co_u64_u32 v[1:2], null, s14, v5, 0
	v_mad_co_u64_u32 v[3:4], null, s12, v255, 0
	s_mul_u64 s[2:3], s[12:13], 0x17a0
	s_mul_u64 s[4:5], s[12:13], s[4:5]
	s_delay_alu instid0(VALU_DEP_1) | instskip(NEXT) | instid1(VALU_DEP_1)
	v_mad_co_u64_u32 v[5:6], null, s15, v5, v[2:3]
	v_mad_co_u64_u32 v[6:7], null, s13, v255, v[4:5]
	v_mov_b32_e32 v2, v5
	s_mov_b32 s13, 0xbfebb67a
	s_delay_alu instid0(VALU_DEP_1) | instskip(NEXT) | instid1(VALU_DEP_3)
	v_lshlrev_b64_e32 v[1:2], 4, v[1:2]
	v_mov_b32_e32 v4, v6
	s_delay_alu instid0(VALU_DEP_2) | instskip(NEXT) | instid1(VALU_DEP_2)
	v_add_co_u32 v1, vcc_lo, s18, v1
	v_lshlrev_b64_e32 v[3:4], 4, v[3:4]
	s_delay_alu instid0(VALU_DEP_4) | instskip(NEXT) | instid1(VALU_DEP_2)
	v_add_co_ci_u32_e32 v2, vcc_lo, s19, v2, vcc_lo
	v_add_co_u32 v1, vcc_lo, v1, v3
	s_wait_alu 0xfffd
	s_delay_alu instid0(VALU_DEP_2)
	v_add_co_ci_u32_e32 v2, vcc_lo, v2, v4, vcc_lo
	global_load_b128 v[9:12], v232, s[8:9]
	global_load_b128 v[16:19], v[1:2], off
	v_add_co_u32 v1, vcc_lo, v1, s2
	s_wait_alu 0xfffd
	v_add_co_ci_u32_e32 v2, vcc_lo, s3, v2, vcc_lo
	global_load_b128 v[28:31], v232, s[8:9] offset:6048
	global_load_b128 v[20:23], v[1:2], off
	global_load_b128 v[32:35], v232, s[8:9] offset:1008
	v_add_co_u32 v1, vcc_lo, v1, s4
	s_wait_alu 0xfffd
	v_add_co_ci_u32_e32 v2, vcc_lo, s5, v2, vcc_lo
	global_load_b128 v[36:39], v232, s[8:9] offset:7056
	global_load_b128 v[24:27], v[1:2], off
	v_add_co_u32 v1, vcc_lo, v1, s2
	s_wait_alu 0xfffd
	v_add_co_ci_u32_e32 v2, vcc_lo, s3, v2, vcc_lo
	s_wait_loadcnt 0x6
	scratch_store_b128 off, v[9:12], off offset:8 ; 16-byte Folded Spill
	s_wait_loadcnt 0x5
	v_mul_f64_e32 v[3:4], v[18:19], v[11:12]
	v_mul_f64_e32 v[5:6], v[16:17], v[11:12]
	s_wait_loadcnt 0x4
	scratch_store_b128 off, v[28:31], off offset:24 ; 16-byte Folded Spill
	s_wait_loadcnt 0x3
	v_mul_f64_e32 v[7:8], v[22:23], v[30:31]
	s_wait_loadcnt 0x2
	scratch_store_b128 off, v[32:35], off offset:40 ; 16-byte Folded Spill
	s_wait_loadcnt 0x1
	scratch_store_b128 off, v[36:39], off offset:56 ; 16-byte Folded Spill
	v_fma_f64 v[48:49], v[16:17], v[9:10], v[3:4]
	v_mul_f64_e32 v[3:4], v[20:21], v[30:31]
	v_fma_f64 v[50:51], v[18:19], v[9:10], -v[5:6]
	global_load_b128 v[16:19], v[1:2], off
	s_wait_loadcnt 0x1
	v_mul_f64_e32 v[5:6], v[24:25], v[34:35]
	v_add_co_u32 v1, vcc_lo, v1, s4
	s_wait_alu 0xfffd
	v_add_co_ci_u32_e32 v2, vcc_lo, s5, v2, vcc_lo
	v_fma_f64 v[52:53], v[20:21], v[28:29], v[7:8]
	v_fma_f64 v[54:55], v[22:23], v[28:29], -v[3:4]
	v_mul_f64_e32 v[3:4], v[26:27], v[34:35]
	v_fma_f64 v[58:59], v[26:27], v[32:33], -v[5:6]
	s_delay_alu instid0(VALU_DEP_2)
	v_fma_f64 v[56:57], v[24:25], v[32:33], v[3:4]
	global_load_b128 v[24:27], v[1:2], off
	s_clause 0x1
	global_load_b128 v[7:10], v232, s[8:9] offset:2016
	global_load_b128 v[11:14], v232, s[8:9] offset:3024
	v_add_co_u32 v1, vcc_lo, v1, s2
	s_wait_alu 0xfffd
	v_add_co_ci_u32_e32 v2, vcc_lo, s3, v2, vcc_lo
	s_wait_loadcnt 0x3
	v_mul_f64_e32 v[3:4], v[18:19], v[38:39]
	v_mul_f64_e32 v[5:6], v[16:17], v[38:39]
	s_delay_alu instid0(VALU_DEP_2) | instskip(NEXT) | instid1(VALU_DEP_2)
	v_fma_f64 v[60:61], v[16:17], v[36:37], v[3:4]
	v_fma_f64 v[62:63], v[18:19], v[36:37], -v[5:6]
	s_wait_loadcnt 0x1
	v_mul_f64_e32 v[3:4], v[26:27], v[9:10]
	v_mul_f64_e32 v[5:6], v[24:25], v[9:10]
	scratch_store_b128 off, v[7:10], off offset:72 ; 16-byte Folded Spill
	v_fma_f64 v[64:65], v[24:25], v[7:8], v[3:4]
	v_fma_f64 v[66:67], v[26:27], v[7:8], -v[5:6]
	global_load_b128 v[32:35], v[1:2], off
	s_clause 0x1
	global_load_b128 v[7:10], v232, s[8:9] offset:8064
	global_load_b128 v[15:18], v232, s[8:9] offset:9072
	v_add_co_u32 v1, vcc_lo, v1, s4
	s_wait_alu 0xfffd
	v_add_co_ci_u32_e32 v2, vcc_lo, s5, v2, vcc_lo
	s_wait_loadcnt 0x3
	scratch_store_b128 off, v[11:14], off offset:88 ; 16-byte Folded Spill
	s_wait_loadcnt 0x1
	v_mul_f64_e32 v[3:4], v[34:35], v[9:10]
	v_mul_f64_e32 v[5:6], v[32:33], v[9:10]
	scratch_store_b128 off, v[7:10], off offset:104 ; 16-byte Folded Spill
	s_wait_loadcnt 0x0
	scratch_store_b128 off, v[15:18], off offset:120 ; 16-byte Folded Spill
	v_fma_f64 v[68:69], v[32:33], v[7:8], v[3:4]
	v_fma_f64 v[70:71], v[34:35], v[7:8], -v[5:6]
	global_load_b128 v[32:35], v[1:2], off
	v_add_co_u32 v1, vcc_lo, v1, s2
	s_wait_alu 0xfffd
	v_add_co_ci_u32_e32 v2, vcc_lo, s3, v2, vcc_lo
	s_wait_loadcnt 0x0
	v_mul_f64_e32 v[3:4], v[34:35], v[13:14]
	v_mul_f64_e32 v[5:6], v[32:33], v[13:14]
	s_delay_alu instid0(VALU_DEP_2) | instskip(NEXT) | instid1(VALU_DEP_2)
	v_fma_f64 v[72:73], v[32:33], v[11:12], v[3:4]
	v_fma_f64 v[74:75], v[34:35], v[11:12], -v[5:6]
	global_load_b128 v[32:35], v[1:2], off
	v_add_co_u32 v1, vcc_lo, v1, s4
	s_wait_alu 0xfffd
	v_add_co_ci_u32_e32 v2, vcc_lo, s5, v2, vcc_lo
	global_load_b128 v[40:43], v[1:2], off
	s_clause 0x1
	global_load_b128 v[7:10], v232, s[8:9] offset:4032
	global_load_b128 v[36:39], v232, s[8:9] offset:5040
	v_add_co_u32 v1, vcc_lo, v1, s2
	s_wait_alu 0xfffd
	v_add_co_ci_u32_e32 v2, vcc_lo, s3, v2, vcc_lo
	s_wait_loadcnt 0x3
	v_mul_f64_e32 v[3:4], v[34:35], v[17:18]
	v_mul_f64_e32 v[5:6], v[32:33], v[17:18]
	v_and_b32_e32 v18, 1, v255
	s_wait_loadcnt 0x1
	scratch_store_b128 off, v[7:10], off offset:136 ; 16-byte Folded Spill
	v_fma_f64 v[76:77], v[32:33], v[15:16], v[3:4]
	v_fma_f64 v[78:79], v[34:35], v[15:16], -v[5:6]
	v_mul_f64_e32 v[3:4], v[42:43], v[9:10]
	v_mul_f64_e32 v[5:6], v[40:41], v[9:10]
	v_lshlrev_b32_e32 v16, 1, v255
	s_delay_alu instid0(VALU_DEP_3) | instskip(NEXT) | instid1(VALU_DEP_3)
	v_fma_f64 v[80:81], v[40:41], v[7:8], v[3:4]
	v_fma_f64 v[82:83], v[42:43], v[7:8], -v[5:6]
	global_load_b128 v[84:87], v[1:2], off
	s_clause 0x1
	global_load_b128 v[40:43], v232, s[8:9] offset:10080
	global_load_b128 v[44:47], v232, s[8:9] offset:11088
	v_add_co_u32 v1, vcc_lo, v1, s4
	s_wait_alu 0xfffd
	v_add_co_ci_u32_e32 v2, vcc_lo, s5, v2, vcc_lo
	global_load_b128 v[88:91], v[1:2], off
	v_add_co_u32 v1, vcc_lo, v1, s2
	s_wait_alu 0xfffd
	v_add_co_ci_u32_e32 v2, vcc_lo, s3, v2, vcc_lo
	v_cmp_gt_u16_e32 vcc_lo, 36, v0
	s_mov_b32 s2, 0xe8584caa
	s_mov_b32 s3, 0x3febb67a
	global_load_b128 v[92:95], v[1:2], off
	s_wait_alu 0xfffe
	s_mov_b32 s12, s2
	s_wait_loadcnt 0x3
	v_mul_f64_e32 v[3:4], v[86:87], v[42:43]
	v_mul_f64_e32 v[5:6], v[84:85], v[42:43]
	s_wait_loadcnt 0x0
	v_mul_f64_e32 v[1:2], v[94:95], v[46:47]
	s_delay_alu instid0(VALU_DEP_3) | instskip(SKIP_1) | instid1(VALU_DEP_4)
	v_fma_f64 v[84:85], v[84:85], v[40:41], v[3:4]
	v_mul_f64_e32 v[3:4], v[90:91], v[38:39]
	v_fma_f64 v[86:87], v[86:87], v[40:41], -v[5:6]
	v_mul_f64_e32 v[5:6], v[88:89], v[38:39]
	s_delay_alu instid0(VALU_DEP_3) | instskip(SKIP_1) | instid1(VALU_DEP_3)
	v_fma_f64 v[88:89], v[88:89], v[36:37], v[3:4]
	v_mul_f64_e32 v[3:4], v[92:93], v[46:47]
	v_fma_f64 v[90:91], v[90:91], v[36:37], -v[5:6]
	v_fma_f64 v[92:93], v[92:93], v[44:45], v[1:2]
	v_lshlrev_b32_e32 v6, 5, v255
	v_add_co_u32 v1, null, v255, 63
	s_delay_alu instid0(VALU_DEP_1)
	v_lshlrev_b32_e32 v2, 5, v1
	v_and_b32_e32 v17, 1, v1
	v_and_b32_e32 v125, 3, v1
	v_fma_f64 v[94:95], v[94:95], v[44:45], -v[3:4]
	v_add_co_u32 v3, null, 0x7e, v255
	ds_store_b128 v232, v[48:51]
	ds_store_b128 v232, v[56:59] offset:1008
	ds_store_b128 v232, v[52:55] offset:6048
	;; [unrolled: 1-line block ×11, first 2 shown]
	s_load_b128 s[4:7], s[6:7], 0x0
	global_wb scope:SCOPE_SE
	s_wait_storecnt_dscnt 0x0
	s_wait_kmcnt 0x0
	s_barrier_signal -1
	s_barrier_wait -1
	global_inv scope:SCOPE_SE
	ds_load_b128 v[48:51], v232 offset:6048
	ds_load_b128 v[52:55], v232
	ds_load_b128 v[56:59], v232 offset:1008
	ds_load_b128 v[60:63], v232 offset:7056
	;; [unrolled: 1-line block ×10, first 2 shown]
	global_wb scope:SCOPE_SE
	s_wait_dscnt 0x0
	s_barrier_signal -1
	s_barrier_wait -1
	global_inv scope:SCOPE_SE
	v_and_b32_e32 v126, 3, v3
	v_add_f64_e64 v[48:49], v[52:53], -v[48:49]
	v_add_f64_e64 v[50:51], v[54:55], -v[50:51]
	;; [unrolled: 1-line block ×10, first 2 shown]
	v_fma_f64 v[52:53], v[52:53], 2.0, -v[48:49]
	v_fma_f64 v[54:55], v[54:55], 2.0, -v[50:51]
	;; [unrolled: 1-line block ×10, first 2 shown]
	ds_store_b128 v6, v[48:51] offset:16
	ds_store_b128 v6, v[52:55]
	v_add_f64_e64 v[48:49], v[88:89], -v[92:93]
	v_add_f64_e64 v[50:51], v[90:91], -v[94:95]
	ds_store_b128 v2, v[56:59]
	ds_store_b128 v2, v[60:63] offset:16
	scratch_store_b32 off, v2, off offset:184 ; 4-byte Folded Spill
	v_lshlrev_b32_e32 v2, 5, v3
	v_add_nc_u32_e32 v60, 0x1f8, v16
	v_add_nc_u32_e32 v61, 0x13b, v255
	ds_store_b128 v2, v[68:71]
	ds_store_b128 v2, v[64:67] offset:16
	scratch_store_b32 off, v2, off offset:180 ; 4-byte Folded Spill
	v_add_co_u32 v2, null, 0xbd, v255
	v_lshlrev_b32_e32 v5, 4, v60
	v_and_b32_e32 v19, 1, v61
	s_delay_alu instid0(VALU_DEP_3) | instskip(SKIP_2) | instid1(VALU_DEP_4)
	v_lshlrev_b32_e32 v4, 5, v2
	v_and_b32_e32 v20, 1, v2
	v_and_b32_e32 v127, 3, v2
	v_lshlrev_b32_e32 v8, 4, v19
	ds_store_b128 v4, v[72:75]
	ds_store_b128 v4, v[76:79] offset:16
	scratch_store_b32 off, v4, off offset:176 ; 4-byte Folded Spill
	v_lshlrev_b32_e32 v4, 4, v16
	ds_store_b128 v5, v[80:83] offset:16
	v_lshlrev_b32_e32 v21, 4, v20
	ds_store_b128 v4, v[84:87] offset:8064
	v_lshlrev_b32_e32 v4, 5, v61
	scratch_store_b32 off, v5, off offset:172 ; 4-byte Folded Spill
	v_lshlrev_b32_e32 v5, 4, v18
	scratch_store_b32 off, v4, off offset:168 ; 4-byte Folded Spill
	v_fma_f64 v[52:53], v[88:89], 2.0, -v[48:49]
	v_fma_f64 v[54:55], v[90:91], 2.0, -v[50:51]
	ds_store_b128 v4, v[48:51] offset:16
	v_lshlrev_b32_e32 v4, 4, v17
	ds_store_b128 v6, v[52:55] offset:10080
	global_wb scope:SCOPE_SE
	s_wait_storecnt_dscnt 0x0
	s_barrier_signal -1
	s_barrier_wait -1
	global_inv scope:SCOPE_SE
	s_clause 0x1
	global_load_b64 v[12:13], v4, s[10:11]
	global_load_b128 v[48:51], v5, s[10:11]
	ds_load_b128 v[52:55], v232 offset:6048
	ds_load_b128 v[56:59], v232 offset:7056
	s_wait_loadcnt_dscnt 0x1
	v_mul_f64_e32 v[4:5], v[54:55], v[50:51]
	v_mul_f64_e32 v[6:7], v[52:53], v[50:51]
	s_delay_alu instid0(VALU_DEP_2) | instskip(NEXT) | instid1(VALU_DEP_2)
	v_fma_f64 v[4:5], v[52:53], v[48:49], -v[4:5]
	v_fma_f64 v[6:7], v[54:55], v[48:49], v[6:7]
	s_clause 0x1
	global_load_b64 v[22:23], v8, s[10:11] offset:8
	global_load_b128 v[52:55], v8, s[10:11]
	scratch_store_b64 off, v[12:13], off offset:152 ; 8-byte Folded Spill
	s_wait_loadcnt_dscnt 0x0
	v_mul_f64_e32 v[8:9], v[58:59], v[54:55]
	v_mul_f64_e32 v[10:11], v[56:57], v[54:55]
	s_delay_alu instid0(VALU_DEP_2) | instskip(NEXT) | instid1(VALU_DEP_2)
	v_fma_f64 v[8:9], v[56:57], v[12:13], -v[8:9]
	v_fma_f64 v[10:11], v[58:59], v[12:13], v[10:11]
	ds_load_b128 v[56:59], v232 offset:8064
	ds_load_b128 v[62:65], v232 offset:9072
	s_wait_dscnt 0x1
	v_mul_f64_e32 v[12:13], v[58:59], v[50:51]
	v_mul_f64_e32 v[14:15], v[56:57], v[50:51]
	s_delay_alu instid0(VALU_DEP_2) | instskip(NEXT) | instid1(VALU_DEP_2)
	v_fma_f64 v[12:13], v[56:57], v[48:49], -v[12:13]
	v_fma_f64 v[14:15], v[58:59], v[48:49], v[14:15]
	global_load_b128 v[56:59], v21, s[10:11]
	s_wait_loadcnt_dscnt 0x0
	v_mul_f64_e32 v[66:67], v[64:65], v[58:59]
	s_delay_alu instid0(VALU_DEP_1) | instskip(SKIP_1) | instid1(VALU_DEP_1)
	v_fma_f64 v[90:91], v[62:63], v[56:57], -v[66:67]
	v_mul_f64_e32 v[62:63], v[62:63], v[58:59]
	v_fma_f64 v[92:93], v[64:65], v[56:57], v[62:63]
	ds_load_b128 v[62:65], v232 offset:10080
	ds_load_b128 v[66:69], v232 offset:11088
	scratch_store_b64 off, v[22:23], off offset:160 ; 8-byte Folded Spill
	s_wait_dscnt 0x1
	v_mul_f64_e32 v[70:71], v[64:65], v[50:51]
	s_delay_alu instid0(VALU_DEP_1) | instskip(SKIP_1) | instid1(VALU_DEP_1)
	v_fma_f64 v[102:103], v[62:63], v[48:49], -v[70:71]
	v_mul_f64_e32 v[62:63], v[62:63], v[50:51]
	v_fma_f64 v[104:105], v[64:65], v[48:49], v[62:63]
	s_wait_dscnt 0x0
	v_mul_f64_e32 v[62:63], v[68:69], v[22:23]
	s_delay_alu instid0(VALU_DEP_1) | instskip(SKIP_1) | instid1(VALU_DEP_1)
	v_fma_f64 v[106:107], v[66:67], v[52:53], -v[62:63]
	v_mul_f64_e32 v[62:63], v[66:67], v[22:23]
	v_fma_f64 v[108:109], v[68:69], v[52:53], v[62:63]
	ds_load_b128 v[62:65], v232
	ds_load_b128 v[66:69], v232 offset:1008
	ds_load_b128 v[78:81], v232 offset:2016
	;; [unrolled: 1-line block ×5, first 2 shown]
	global_wb scope:SCOPE_SE
	s_wait_storecnt_dscnt 0x0
	s_barrier_signal -1
	s_barrier_wait -1
	global_inv scope:SCOPE_SE
	v_add_f64_e64 v[70:71], v[62:63], -v[4:5]
	v_add_f64_e64 v[72:73], v[64:65], -v[6:7]
	;; [unrolled: 1-line block ×10, first 2 shown]
	v_and_or_b32 v4, 0x7c, v16, v18
	v_add_f64_e64 v[106:107], v[98:99], -v[106:107]
	s_delay_alu instid0(VALU_DEP_2)
	v_lshlrev_b32_e32 v4, 4, v4
	v_add_f64_e64 v[108:109], v[100:101], -v[108:109]
	scratch_store_b32 off, v4, off offset:204 ; 4-byte Folded Spill
	v_fma_f64 v[62:63], v[62:63], 2.0, -v[70:71]
	v_fma_f64 v[64:65], v[64:65], 2.0, -v[72:73]
	;; [unrolled: 1-line block ×6, first 2 shown]
	ds_store_b128 v4, v[70:73] offset:32
	v_fma_f64 v[82:83], v[82:83], 2.0, -v[90:91]
	v_fma_f64 v[84:85], v[84:85], 2.0, -v[92:93]
	;; [unrolled: 1-line block ×6, first 2 shown]
	ds_store_b128 v4, v[62:65]
	v_lshlrev_b32_e32 v4, 1, v1
	s_delay_alu instid0(VALU_DEP_1) | instskip(NEXT) | instid1(VALU_DEP_1)
	v_and_or_b32 v4, 0xfc, v4, v17
	v_lshlrev_b32_e32 v4, 4, v4
	ds_store_b128 v4, v[66:69]
	ds_store_b128 v4, v[74:77] offset:32
	scratch_store_b32 off, v4, off offset:208 ; 4-byte Folded Spill
	v_lshlrev_b32_e32 v4, 1, v3
	s_delay_alu instid0(VALU_DEP_1) | instskip(NEXT) | instid1(VALU_DEP_1)
	v_and_or_b32 v4, 0x1fc, v4, v18
	v_lshlrev_b32_e32 v4, 4, v4
	ds_store_b128 v4, v[78:81]
	ds_store_b128 v4, v[86:89] offset:32
	scratch_store_b32 off, v4, off offset:200 ; 4-byte Folded Spill
	;; [unrolled: 7-line block ×3, first 2 shown]
	v_and_or_b32 v4, 0x3fc, v60, v18
	s_delay_alu instid0(VALU_DEP_1) | instskip(SKIP_4) | instid1(VALU_DEP_1)
	v_lshlrev_b32_e32 v4, 4, v4
	ds_store_b128 v4, v[94:97]
	ds_store_b128 v4, v[102:105] offset:32
	scratch_store_b32 off, v4, off offset:192 ; 4-byte Folded Spill
	v_lshlrev_b32_e32 v4, 1, v61
	v_and_or_b32 v4, 0x2fc, v4, v19
	s_delay_alu instid0(VALU_DEP_1)
	v_lshlrev_b32_e32 v4, 4, v4
	ds_store_b128 v4, v[98:101]
	ds_store_b128 v4, v[106:109] offset:32
	scratch_store_b32 off, v4, off offset:188 ; 4-byte Folded Spill
	v_lshlrev_b32_e32 v4, 5, v124
	global_wb scope:SCOPE_SE
	s_wait_storecnt_dscnt 0x0
	s_barrier_signal -1
	s_barrier_wait -1
	global_inv scope:SCOPE_SE
	s_clause 0x1
	global_load_b128 v[60:63], v4, s[10:11] offset:32
	global_load_b128 v[64:67], v4, s[10:11] offset:48
	ds_load_b128 v[68:71], v232 offset:4032
	ds_load_b128 v[72:75], v232 offset:5040
	s_wait_loadcnt_dscnt 0x101
	v_mul_f64_e32 v[4:5], v[70:71], v[62:63]
	s_delay_alu instid0(VALU_DEP_1) | instskip(SKIP_1) | instid1(VALU_DEP_1)
	v_fma_f64 v[94:95], v[68:69], v[60:61], -v[4:5]
	v_mul_f64_e32 v[4:5], v[68:69], v[62:63]
	v_fma_f64 v[102:103], v[70:71], v[60:61], v[4:5]
	ds_load_b128 v[68:71], v232 offset:8064
	ds_load_b128 v[84:87], v232 offset:9072
	s_wait_loadcnt_dscnt 0x1
	v_mul_f64_e32 v[4:5], v[70:71], v[66:67]
	s_delay_alu instid0(VALU_DEP_1) | instskip(SKIP_1) | instid1(VALU_DEP_1)
	v_fma_f64 v[116:117], v[68:69], v[64:65], -v[4:5]
	v_mul_f64_e32 v[4:5], v[68:69], v[66:67]
	v_fma_f64 v[122:123], v[70:71], v[64:65], v[4:5]
	v_lshlrev_b32_e32 v4, 5, v125
	s_clause 0x1
	global_load_b128 v[80:83], v4, s[10:11] offset:32
	global_load_b128 v[76:79], v4, s[10:11] offset:48
	v_add_f64_e64 v[12:13], v[102:103], -v[122:123]
	v_add_f64_e32 v[6:7], v[102:103], v[122:123]
	s_wait_loadcnt 0x1
	v_mul_f64_e32 v[4:5], v[74:75], v[82:83]
	s_delay_alu instid0(VALU_DEP_1) | instskip(SKIP_1) | instid1(VALU_DEP_1)
	v_fma_f64 v[96:97], v[72:73], v[80:81], -v[4:5]
	v_mul_f64_e32 v[4:5], v[72:73], v[82:83]
	v_fma_f64 v[106:107], v[74:75], v[80:81], v[4:5]
	s_wait_loadcnt_dscnt 0x0
	v_mul_f64_e32 v[4:5], v[86:87], v[78:79]
	s_delay_alu instid0(VALU_DEP_1) | instskip(SKIP_1) | instid1(VALU_DEP_1)
	v_fma_f64 v[104:105], v[84:85], v[76:77], -v[4:5]
	v_mul_f64_e32 v[4:5], v[84:85], v[78:79]
	v_fma_f64 v[112:113], v[86:87], v[76:77], v[4:5]
	v_lshlrev_b32_e32 v4, 5, v126
	s_clause 0x1
	global_load_b128 v[72:75], v4, s[10:11] offset:32
	global_load_b128 v[68:71], v4, s[10:11] offset:48
	ds_load_b128 v[84:87], v232 offset:6048
	ds_load_b128 v[108:111], v232 offset:7056
	s_wait_loadcnt_dscnt 0x101
	v_mul_f64_e32 v[4:5], v[86:87], v[74:75]
	s_delay_alu instid0(VALU_DEP_1) | instskip(SKIP_1) | instid1(VALU_DEP_1)
	v_fma_f64 v[92:93], v[84:85], v[72:73], -v[4:5]
	v_mul_f64_e32 v[4:5], v[84:85], v[74:75]
	v_fma_f64 v[98:99], v[86:87], v[72:73], v[4:5]
	ds_load_b128 v[84:87], v232 offset:10080
	ds_load_b128 v[128:131], v232 offset:11088
	s_wait_loadcnt_dscnt 0x1
	v_mul_f64_e32 v[4:5], v[86:87], v[70:71]
	s_delay_alu instid0(VALU_DEP_1) | instskip(SKIP_1) | instid1(VALU_DEP_1)
	v_fma_f64 v[114:115], v[84:85], v[68:69], -v[4:5]
	v_mul_f64_e32 v[4:5], v[84:85], v[70:71]
	v_fma_f64 v[120:121], v[86:87], v[68:69], v[4:5]
	v_lshlrev_b32_e32 v4, 5, v127
	s_clause 0x1
	global_load_b128 v[88:91], v4, s[10:11] offset:32
	global_load_b128 v[84:87], v4, s[10:11] offset:48
	s_wait_loadcnt 0x1
	v_mul_f64_e32 v[4:5], v[110:111], v[90:91]
	s_delay_alu instid0(VALU_DEP_1) | instskip(SKIP_1) | instid1(VALU_DEP_1)
	v_fma_f64 v[100:101], v[108:109], v[88:89], -v[4:5]
	v_mul_f64_e32 v[4:5], v[108:109], v[90:91]
	v_fma_f64 v[110:111], v[110:111], v[88:89], v[4:5]
	s_wait_loadcnt_dscnt 0x0
	v_mul_f64_e32 v[4:5], v[130:131], v[86:87]
	s_delay_alu instid0(VALU_DEP_1) | instskip(SKIP_1) | instid1(VALU_DEP_1)
	v_fma_f64 v[108:109], v[128:129], v[84:85], -v[4:5]
	v_mul_f64_e32 v[4:5], v[128:129], v[86:87]
	v_fma_f64 v[118:119], v[130:131], v[84:85], v[4:5]
	v_add_f64_e32 v[4:5], v[94:95], v[116:117]
	ds_load_b128 v[128:131], v232
	ds_load_b128 v[132:135], v232 offset:1008
	ds_load_b128 v[144:147], v232 offset:2016
	;; [unrolled: 1-line block ×3, first 2 shown]
	global_wb scope:SCOPE_SE
	s_wait_dscnt 0x0
	s_barrier_signal -1
	s_barrier_wait -1
	global_inv scope:SCOPE_SE
	v_add_f64_e32 v[8:9], v[130:131], v[102:103]
	v_fma_f64 v[6:7], v[6:7], -0.5, v[130:131]
	v_add_f64_e32 v[10:11], v[128:129], v[94:95]
	v_fma_f64 v[4:5], v[4:5], -0.5, v[128:129]
	s_delay_alu instid0(VALU_DEP_4) | instskip(SKIP_1) | instid1(VALU_DEP_4)
	v_add_f64_e32 v[130:131], v[8:9], v[122:123]
	v_add_f64_e64 v[8:9], v[94:95], -v[116:117]
	v_add_f64_e32 v[128:129], v[10:11], v[116:117]
	v_add_f64_e32 v[10:11], v[132:133], v[96:97]
	v_fma_f64 v[136:137], v[12:13], s[2:3], v[4:5]
	v_fma_f64 v[140:141], v[12:13], s[12:13], v[4:5]
	v_add_f64_e32 v[4:5], v[96:97], v[104:105]
	v_add_f64_e64 v[12:13], v[106:107], -v[112:113]
	v_fma_f64 v[138:139], v[8:9], s[12:13], v[6:7]
	v_fma_f64 v[142:143], v[8:9], s[2:3], v[6:7]
	v_add_f64_e32 v[6:7], v[106:107], v[112:113]
	v_add_f64_e32 v[8:9], v[134:135], v[106:107]
	v_fma_f64 v[4:5], v[4:5], -0.5, v[132:133]
	v_add_f64_e32 v[132:133], v[10:11], v[104:105]
	v_add_f64_e32 v[10:11], v[144:145], v[92:93]
	v_fma_f64 v[6:7], v[6:7], -0.5, v[134:135]
	v_add_f64_e32 v[134:135], v[8:9], v[112:113]
	v_add_f64_e64 v[8:9], v[96:97], -v[104:105]
	v_fma_f64 v[94:95], v[12:13], s[2:3], v[4:5]
	v_fma_f64 v[102:103], v[12:13], s[12:13], v[4:5]
	v_add_f64_e32 v[4:5], v[92:93], v[114:115]
	v_add_f64_e64 v[12:13], v[98:99], -v[120:121]
	v_fma_f64 v[96:97], v[8:9], s[12:13], v[6:7]
	v_fma_f64 v[104:105], v[8:9], s[2:3], v[6:7]
	v_add_f64_e32 v[6:7], v[98:99], v[120:121]
	v_add_f64_e32 v[8:9], v[146:147], v[98:99]
	v_fma_f64 v[4:5], v[4:5], -0.5, v[144:145]
	s_delay_alu instid0(VALU_DEP_3) | instskip(NEXT) | instid1(VALU_DEP_3)
	v_fma_f64 v[6:7], v[6:7], -0.5, v[146:147]
	v_add_f64_e32 v[122:123], v[8:9], v[120:121]
	v_add_f64_e64 v[8:9], v[92:93], -v[114:115]
	v_add_f64_e32 v[120:121], v[10:11], v[114:115]
	v_add_f64_e32 v[10:11], v[148:149], v[100:101]
	v_fma_f64 v[112:113], v[12:13], s[2:3], v[4:5]
	v_fma_f64 v[144:145], v[12:13], s[12:13], v[4:5]
	v_add_f64_e32 v[4:5], v[100:101], v[108:109]
	v_add_f64_e64 v[12:13], v[110:111], -v[118:119]
	v_fma_f64 v[114:115], v[8:9], s[12:13], v[6:7]
	v_fma_f64 v[146:147], v[8:9], s[2:3], v[6:7]
	v_add_f64_e32 v[6:7], v[110:111], v[118:119]
	v_add_f64_e32 v[8:9], v[150:151], v[110:111]
	;; [unrolled: 1-line block ×3, first 2 shown]
	v_fma_f64 v[4:5], v[4:5], -0.5, v[148:149]
	s_delay_alu instid0(VALU_DEP_4) | instskip(NEXT) | instid1(VALU_DEP_4)
	v_fma_f64 v[6:7], v[6:7], -0.5, v[150:151]
	v_add_f64_e32 v[118:119], v[8:9], v[118:119]
	v_add_f64_e64 v[8:9], v[100:101], -v[108:109]
	s_delay_alu instid0(VALU_DEP_4) | instskip(SKIP_2) | instid1(VALU_DEP_1)
	v_fma_f64 v[98:99], v[12:13], s[2:3], v[4:5]
	v_fma_f64 v[106:107], v[12:13], s[12:13], v[4:5]
	v_lshrrev_b32_e32 v4, 2, v255
	v_mul_u32_u24_e32 v4, 12, v4
	s_delay_alu instid0(VALU_DEP_1) | instskip(NEXT) | instid1(VALU_DEP_1)
	v_or_b32_e32 v4, v4, v124
	v_lshlrev_b32_e32 v4, 4, v4
	ds_store_b128 v4, v[128:131]
	ds_store_b128 v4, v[136:139] offset:64
	scratch_store_b32 off, v4, off offset:220 ; 4-byte Folded Spill
	ds_store_b128 v4, v[140:143] offset:128
	v_lshrrev_b32_e32 v4, 2, v1
	v_and_b32_e32 v136, 0xff, v3
	v_fma_f64 v[108:109], v[8:9], s[2:3], v[6:7]
	v_fma_f64 v[100:101], v[8:9], s[12:13], v[6:7]
	s_delay_alu instid0(VALU_DEP_4) | instskip(NEXT) | instid1(VALU_DEP_4)
	v_mul_u32_u24_e32 v4, 12, v4
	v_mul_lo_u16 v16, 0xab, v136
	v_mul_lo_u16 v17, v136, 57
	s_delay_alu instid0(VALU_DEP_3) | instskip(NEXT) | instid1(VALU_DEP_3)
	v_or_b32_e32 v4, v4, v125
	v_lshrrev_b16 v130, 11, v16
	s_delay_alu instid0(VALU_DEP_3) | instskip(NEXT) | instid1(VALU_DEP_3)
	v_lshrrev_b16 v17, 11, v17
	v_lshlrev_b32_e32 v4, 4, v4
	ds_store_b128 v4, v[132:135]
	ds_store_b128 v4, v[94:97] offset:64
	scratch_store_b32 off, v4, off offset:224 ; 4-byte Folded Spill
	ds_store_b128 v4, v[102:105] offset:128
	v_lshrrev_b32_e32 v4, 2, v3
	v_and_b32_e32 v132, 0xff, v1
	v_mul_lo_u16 v16, v130, 12
	v_mul_lo_u16 v18, v17, 36
	s_delay_alu instid0(VALU_DEP_4) | instskip(NEXT) | instid1(VALU_DEP_4)
	v_mul_u32_u24_e32 v4, 12, v4
	v_mul_lo_u16 v10, 0xab, v132
	s_delay_alu instid0(VALU_DEP_4) | instskip(NEXT) | instid1(VALU_DEP_4)
	v_sub_nc_u16 v16, v3, v16
	v_sub_nc_u16 v3, v3, v18
	s_delay_alu instid0(VALU_DEP_4) | instskip(NEXT) | instid1(VALU_DEP_4)
	v_or_b32_e32 v4, v4, v126
	v_lshrrev_b16 v128, 11, v10
	s_delay_alu instid0(VALU_DEP_4) | instskip(NEXT) | instid1(VALU_DEP_4)
	v_and_b32_e32 v131, 0xff, v16
	v_and_b32_e32 v18, 0xff, v3
	s_delay_alu instid0(VALU_DEP_4)
	v_lshlrev_b32_e32 v4, 4, v4
	ds_store_b128 v4, v[120:123]
	ds_store_b128 v4, v[112:115] offset:64
	scratch_store_b32 off, v4, off offset:216 ; 4-byte Folded Spill
	ds_store_b128 v4, v[144:147] offset:128
	v_lshrrev_b32_e32 v4, 2, v2
	v_mul_lo_u16 v10, v128, 12
	v_lshlrev_b32_e32 v16, 5, v131
	v_and_b32_e32 v144, 0xff, v2
	v_lshlrev_b32_e32 v3, 5, v18
	v_mul_u32_u24_e32 v4, 12, v4
	v_sub_nc_u16 v10, v1, v10
	s_delay_alu instid0(VALU_DEP_2) | instskip(NEXT) | instid1(VALU_DEP_2)
	v_or_b32_e32 v4, v4, v127
	v_and_b32_e32 v129, 0xff, v10
	s_delay_alu instid0(VALU_DEP_2)
	v_lshlrev_b32_e32 v4, 4, v4
	ds_store_b128 v4, v[116:119]
	ds_store_b128 v4, v[98:101] offset:64
	scratch_store_b32 off, v4, off offset:212 ; 4-byte Folded Spill
	ds_store_b128 v4, v[106:109] offset:128
	v_and_b32_e32 v4, 0xff, v0
	global_wb scope:SCOPE_SE
	s_wait_storecnt_dscnt 0x0
	s_barrier_signal -1
	s_barrier_wait -1
	global_inv scope:SCOPE_SE
	v_mul_lo_u16 v4, 0xab, v4
	v_lshlrev_b32_e32 v10, 5, v129
	s_delay_alu instid0(VALU_DEP_2) | instskip(NEXT) | instid1(VALU_DEP_1)
	v_lshrrev_b16 v127, 11, v4
	v_mul_lo_u16 v4, v127, 12
	s_delay_alu instid0(VALU_DEP_1) | instskip(NEXT) | instid1(VALU_DEP_1)
	v_sub_nc_u16 v4, v0, v4
	v_and_b32_e32 v126, 0xff, v4
	s_delay_alu instid0(VALU_DEP_1)
	v_lshlrev_b32_e32 v4, 5, v126
	s_clause 0x1
	global_load_b128 v[92:95], v4, s[10:11] offset:160
	global_load_b128 v[96:99], v4, s[10:11] offset:176
	ds_load_b128 v[100:103], v232 offset:4032
	ds_load_b128 v[108:111], v232 offset:5040
	s_wait_loadcnt_dscnt 0x101
	v_mul_f64_e32 v[4:5], v[102:103], v[94:95]
	s_delay_alu instid0(VALU_DEP_1) | instskip(SKIP_1) | instid1(VALU_DEP_1)
	v_fma_f64 v[124:125], v[100:101], v[92:93], -v[4:5]
	v_mul_f64_e32 v[4:5], v[100:101], v[94:95]
	v_fma_f64 v[4:5], v[102:103], v[92:93], v[4:5]
	ds_load_b128 v[100:103], v232 offset:8064
	ds_load_b128 v[116:119], v232 offset:9072
	s_clause 0x1
	global_load_b128 v[112:115], v10, s[10:11] offset:160
	global_load_b128 v[104:107], v10, s[10:11] offset:176
	s_wait_loadcnt_dscnt 0x201
	v_mul_f64_e32 v[6:7], v[102:103], v[98:99]
	v_mul_f64_e32 v[8:9], v[100:101], v[98:99]
	s_delay_alu instid0(VALU_DEP_2) | instskip(NEXT) | instid1(VALU_DEP_2)
	v_fma_f64 v[6:7], v[100:101], v[96:97], -v[6:7]
	v_fma_f64 v[8:9], v[102:103], v[96:97], v[8:9]
	s_wait_loadcnt 0x1
	v_mul_f64_e32 v[10:11], v[110:111], v[114:115]
	v_mul_f64_e32 v[12:13], v[108:109], v[114:115]
	s_wait_loadcnt_dscnt 0x0
	v_mul_f64_e32 v[100:101], v[116:117], v[106:107]
	v_mul_f64_e32 v[14:15], v[118:119], v[106:107]
	s_delay_alu instid0(VALU_DEP_4) | instskip(NEXT) | instid1(VALU_DEP_4)
	v_fma_f64 v[10:11], v[108:109], v[112:113], -v[10:11]
	v_fma_f64 v[12:13], v[110:111], v[112:113], v[12:13]
	s_delay_alu instid0(VALU_DEP_4)
	v_fma_f64 v[141:142], v[118:119], v[104:105], v[100:101]
	s_clause 0x1
	global_load_b128 v[108:111], v16, s[10:11] offset:160
	global_load_b128 v[100:103], v16, s[10:11] offset:176
	v_fma_f64 v[14:15], v[116:117], v[104:105], -v[14:15]
	ds_load_b128 v[116:119], v232 offset:6048
	ds_load_b128 v[137:140], v232 offset:7056
	v_mul_lo_u16 v16, 0xab, v144
	s_delay_alu instid0(VALU_DEP_1) | instskip(NEXT) | instid1(VALU_DEP_1)
	v_lshrrev_b16 v133, 11, v16
	v_mul_lo_u16 v16, v133, 12
	s_delay_alu instid0(VALU_DEP_1) | instskip(NEXT) | instid1(VALU_DEP_1)
	v_sub_nc_u16 v16, v2, v16
	v_and_b32_e32 v134, 0xff, v16
	s_delay_alu instid0(VALU_DEP_1) | instskip(SKIP_2) | instid1(VALU_DEP_1)
	v_lshlrev_b32_e32 v16, 5, v134
	s_wait_loadcnt_dscnt 0x101
	v_mul_f64_e32 v[120:121], v[118:119], v[110:111]
	v_fma_f64 v[173:174], v[116:117], v[108:109], -v[120:121]
	v_mul_f64_e32 v[116:117], v[116:117], v[110:111]
	s_delay_alu instid0(VALU_DEP_1) | instskip(SKIP_4) | instid1(VALU_DEP_1)
	v_fma_f64 v[175:176], v[118:119], v[108:109], v[116:117]
	ds_load_b128 v[116:119], v232 offset:10080
	ds_load_b128 v[145:148], v232 offset:11088
	s_wait_loadcnt_dscnt 0x1
	v_mul_f64_e32 v[120:121], v[118:119], v[102:103]
	v_fma_f64 v[177:178], v[116:117], v[100:101], -v[120:121]
	v_mul_f64_e32 v[116:117], v[116:117], v[102:103]
	s_delay_alu instid0(VALU_DEP_1)
	v_fma_f64 v[179:180], v[118:119], v[100:101], v[116:117]
	s_clause 0x1
	global_load_b128 v[120:123], v16, s[10:11] offset:160
	global_load_b128 v[116:119], v16, s[10:11] offset:176
	s_wait_loadcnt 0x1
	v_mul_f64_e32 v[149:150], v[139:140], v[122:123]
	s_delay_alu instid0(VALU_DEP_1) | instskip(SKIP_2) | instid1(VALU_DEP_2)
	v_fma_f64 v[181:182], v[137:138], v[120:121], -v[149:150]
	v_mul_f64_e32 v[137:138], v[137:138], v[122:123]
	v_add_f64_e32 v[149:150], v[124:125], v[6:7]
	v_fma_f64 v[183:184], v[139:140], v[120:121], v[137:138]
	s_wait_loadcnt_dscnt 0x0
	v_mul_f64_e32 v[137:138], v[147:148], v[118:119]
	s_delay_alu instid0(VALU_DEP_1) | instskip(SKIP_1) | instid1(VALU_DEP_1)
	v_fma_f64 v[185:186], v[145:146], v[116:117], -v[137:138]
	v_mul_f64_e32 v[137:138], v[145:146], v[118:119]
	v_fma_f64 v[187:188], v[147:148], v[116:117], v[137:138]
	ds_load_b128 v[137:140], v232
	ds_load_b128 v[145:148], v232 offset:1008
	ds_load_b128 v[165:168], v232 offset:2016
	;; [unrolled: 1-line block ×3, first 2 shown]
	global_wb scope:SCOPE_SE
	s_wait_dscnt 0x0
	s_barrier_signal -1
	s_barrier_wait -1
	global_inv scope:SCOPE_SE
	v_fma_f64 v[151:152], v[149:150], -0.5, v[137:138]
	v_add_f64_e32 v[149:150], v[4:5], v[8:9]
	v_add_f64_e32 v[137:138], v[137:138], v[124:125]
	s_delay_alu instid0(VALU_DEP_2) | instskip(SKIP_2) | instid1(VALU_DEP_4)
	v_fma_f64 v[155:156], v[149:150], -0.5, v[139:140]
	v_add_f64_e32 v[139:140], v[139:140], v[4:5]
	v_add_f64_e64 v[4:5], v[4:5], -v[8:9]
	v_add_f64_e32 v[137:138], v[137:138], v[6:7]
	v_add_f64_e64 v[6:7], v[124:125], -v[6:7]
	v_add_f64_e32 v[124:125], v[145:146], v[10:11]
	v_add_f64_e32 v[139:140], v[139:140], v[8:9]
	v_fma_f64 v[149:150], v[4:5], s[2:3], v[151:152]
	v_fma_f64 v[153:154], v[4:5], s[12:13], v[151:152]
	v_add_f64_e32 v[4:5], v[10:11], v[14:15]
	v_fma_f64 v[151:152], v[6:7], s[12:13], v[155:156]
	v_fma_f64 v[155:156], v[6:7], s[2:3], v[155:156]
	v_add_f64_e32 v[6:7], v[12:13], v[141:142]
	v_add_f64_e32 v[8:9], v[147:148], v[12:13]
	v_add_f64_e64 v[12:13], v[12:13], -v[141:142]
	v_fma_f64 v[4:5], v[4:5], -0.5, v[145:146]
	v_add_f64_e32 v[145:146], v[124:125], v[14:15]
	v_fma_f64 v[6:7], v[6:7], -0.5, v[147:148]
	v_add_f64_e32 v[147:148], v[8:9], v[141:142]
	v_add_f64_e64 v[8:9], v[10:11], -v[14:15]
	v_add_f64_e32 v[10:11], v[165:166], v[173:174]
	v_fma_f64 v[157:158], v[12:13], s[2:3], v[4:5]
	v_fma_f64 v[161:162], v[12:13], s[12:13], v[4:5]
	v_add_f64_e32 v[4:5], v[173:174], v[177:178]
	v_add_f64_e64 v[12:13], v[175:176], -v[179:180]
	v_fma_f64 v[159:160], v[8:9], s[12:13], v[6:7]
	v_fma_f64 v[163:164], v[8:9], s[2:3], v[6:7]
	v_add_f64_e32 v[6:7], v[175:176], v[179:180]
	v_add_f64_e32 v[8:9], v[167:168], v[175:176]
	v_fma_f64 v[4:5], v[4:5], -0.5, v[165:166]
	v_add_f64_e32 v[165:166], v[10:11], v[177:178]
	v_add_f64_e32 v[10:11], v[169:170], v[181:182]
	v_fma_f64 v[6:7], v[6:7], -0.5, v[167:168]
	v_add_f64_e32 v[167:168], v[8:9], v[179:180]
	v_add_f64_e64 v[8:9], v[173:174], -v[177:178]
	v_fma_f64 v[173:174], v[12:13], s[2:3], v[4:5]
	v_fma_f64 v[177:178], v[12:13], s[12:13], v[4:5]
	v_add_f64_e32 v[4:5], v[181:182], v[185:186]
	v_add_f64_e64 v[12:13], v[183:184], -v[187:188]
	v_fma_f64 v[175:176], v[8:9], s[12:13], v[6:7]
	v_fma_f64 v[179:180], v[8:9], s[2:3], v[6:7]
	v_add_f64_e32 v[6:7], v[183:184], v[187:188]
	v_add_f64_e32 v[8:9], v[171:172], v[183:184]
	v_fma_f64 v[4:5], v[4:5], -0.5, v[169:170]
	v_add_f64_e32 v[169:170], v[10:11], v[185:186]
	s_delay_alu instid0(VALU_DEP_4) | instskip(NEXT) | instid1(VALU_DEP_4)
	v_fma_f64 v[6:7], v[6:7], -0.5, v[171:172]
	v_add_f64_e32 v[171:172], v[8:9], v[187:188]
	v_add_f64_e64 v[8:9], v[181:182], -v[185:186]
	v_fma_f64 v[181:182], v[12:13], s[2:3], v[4:5]
	v_fma_f64 v[185:186], v[12:13], s[12:13], v[4:5]
	v_mul_lo_u16 v4, v127, 36
	v_mul_lo_u16 v13, v132, 57
	s_delay_alu instid0(VALU_DEP_2) | instskip(NEXT) | instid1(VALU_DEP_2)
	v_and_b32_e32 v4, 0xfc, v4
	v_lshrrev_b16 v15, 11, v13
	v_fma_f64 v[187:188], v[8:9], s[2:3], v[6:7]
	v_fma_f64 v[183:184], v[8:9], s[12:13], v[6:7]
	s_delay_alu instid0(VALU_DEP_4)
	v_add_lshl_u32 v4, v4, v126, 4
	ds_store_b128 v4, v[137:140]
	ds_store_b128 v4, v[149:152] offset:192
	scratch_store_b32 off, v4, off offset:248 ; 4-byte Folded Spill
	ds_store_b128 v4, v[153:156] offset:384
	v_and_b32_e32 v4, 0xffff, v128
	v_mul_lo_u16 v13, v15, 36
	s_delay_alu instid0(VALU_DEP_2) | instskip(NEXT) | instid1(VALU_DEP_2)
	v_mul_u32_u24_e32 v4, 36, v4
	v_sub_nc_u16 v13, v1, v13
	s_delay_alu instid0(VALU_DEP_2)
	v_add_lshl_u32 v4, v4, v129, 4
	ds_store_b128 v4, v[145:148]
	ds_store_b128 v4, v[157:160] offset:192
	scratch_store_b32 off, v4, off offset:244 ; 4-byte Folded Spill
	ds_store_b128 v4, v[161:164] offset:384
	v_and_b32_e32 v4, 0xffff, v130
	v_and_b32_e32 v16, 0xff, v13
	s_delay_alu instid0(VALU_DEP_2) | instskip(NEXT) | instid1(VALU_DEP_2)
	v_mul_u32_u24_e32 v4, 36, v4
	v_lshlrev_b32_e32 v13, 5, v16
	s_delay_alu instid0(VALU_DEP_2)
	v_add_lshl_u32 v4, v4, v131, 4
	ds_store_b128 v4, v[165:168]
	ds_store_b128 v4, v[173:176] offset:192
	scratch_store_b32 off, v4, off offset:232 ; 4-byte Folded Spill
	ds_store_b128 v4, v[177:180] offset:384
	v_and_b32_e32 v4, 0xffff, v133
	s_delay_alu instid0(VALU_DEP_1) | instskip(NEXT) | instid1(VALU_DEP_1)
	v_mul_u32_u24_e32 v4, 36, v4
	v_add_lshl_u32 v4, v4, v134, 4
	ds_store_b128 v4, v[169:172]
	ds_store_b128 v4, v[181:184] offset:192
	scratch_store_b32 off, v4, off offset:228 ; 4-byte Folded Spill
	ds_store_b128 v4, v[185:188] offset:384
	v_add_co_u32 v4, s14, 0xffffffdc, v255
	s_wait_alu 0xf1ff
	v_add_co_ci_u32_e64 v5, null, 0, -1, s14
	global_wb scope:SCOPE_SE
	s_wait_storecnt_dscnt 0x0
	v_cndmask_b32_e32 v4, v4, v255, vcc_lo
	s_barrier_signal -1
	v_cndmask_b32_e64 v5, v5, 0, vcc_lo
	s_barrier_wait -1
	global_inv scope:SCOPE_SE
	v_lshlrev_b64_e32 v[5:6], 5, v[4:5]
	s_delay_alu instid0(VALU_DEP_1) | instskip(SKIP_1) | instid1(VALU_DEP_2)
	v_add_co_u32 v5, vcc_lo, s10, v5
	s_wait_alu 0xfffd
	v_add_co_ci_u32_e32 v6, vcc_lo, s11, v6, vcc_lo
	s_clause 0x1
	global_load_b128 v[124:127], v[5:6], off offset:544
	global_load_b128 v[128:131], v[5:6], off offset:560
	ds_load_b128 v[137:140], v232 offset:4032
	ds_load_b128 v[145:148], v232 offset:5040
	v_cmp_lt_u16_e32 vcc_lo, 35, v0
	s_wait_loadcnt_dscnt 0x101
	v_mul_f64_e32 v[5:6], v[139:140], v[126:127]
	v_mul_f64_e32 v[7:8], v[137:138], v[126:127]
	s_delay_alu instid0(VALU_DEP_2) | instskip(NEXT) | instid1(VALU_DEP_2)
	v_fma_f64 v[5:6], v[137:138], v[124:125], -v[5:6]
	v_fma_f64 v[7:8], v[139:140], v[124:125], v[7:8]
	ds_load_b128 v[137:140], v232 offset:8064
	ds_load_b128 v[149:152], v232 offset:9072
	s_wait_loadcnt_dscnt 0x1
	v_mul_f64_e32 v[11:12], v[137:138], v[130:131]
	v_mul_f64_e32 v[9:10], v[139:140], v[130:131]
	s_delay_alu instid0(VALU_DEP_2)
	v_fma_f64 v[11:12], v[139:140], v[128:129], v[11:12]
	s_clause 0x1
	global_load_b128 v[140:143], v13, s[10:11] offset:544
	global_load_b128 v[132:135], v13, s[10:11] offset:560
	v_fma_f64 v[9:10], v[137:138], v[128:129], -v[9:10]
	s_wait_loadcnt 0x1
	v_mul_f64_e32 v[137:138], v[145:146], v[142:143]
	v_mul_f64_e32 v[13:14], v[147:148], v[142:143]
	s_delay_alu instid0(VALU_DEP_2) | instskip(SKIP_2) | instid1(VALU_DEP_3)
	v_fma_f64 v[180:181], v[147:148], v[140:141], v[137:138]
	s_wait_loadcnt_dscnt 0x0
	v_mul_f64_e32 v[137:138], v[151:152], v[134:135]
	v_fma_f64 v[13:14], v[145:146], v[140:141], -v[13:14]
	s_delay_alu instid0(VALU_DEP_2) | instskip(SKIP_1) | instid1(VALU_DEP_1)
	v_fma_f64 v[182:183], v[149:150], v[132:133], -v[137:138]
	v_mul_f64_e32 v[137:138], v[149:150], v[134:135]
	v_fma_f64 v[184:185], v[151:152], v[132:133], v[137:138]
	s_clause 0x1
	global_load_b128 v[136:139], v3, s[10:11] offset:544
	global_load_b128 v[152:155], v3, s[10:11] offset:560
	ds_load_b128 v[145:148], v232 offset:6048
	ds_load_b128 v[156:159], v232 offset:7056
	v_mul_lo_u16 v3, v144, 57
	s_delay_alu instid0(VALU_DEP_1) | instskip(NEXT) | instid1(VALU_DEP_1)
	v_lshrrev_b16 v19, 11, v3
	v_mul_lo_u16 v3, v19, 36
	s_delay_alu instid0(VALU_DEP_1) | instskip(NEXT) | instid1(VALU_DEP_1)
	v_sub_nc_u16 v2, v2, v3
	v_and_b32_e32 v20, 0xff, v2
	s_delay_alu instid0(VALU_DEP_1) | instskip(SKIP_2) | instid1(VALU_DEP_1)
	v_lshlrev_b32_e32 v2, 5, v20
	s_wait_loadcnt_dscnt 0x101
	v_mul_f64_e32 v[149:150], v[147:148], v[138:139]
	v_fma_f64 v[192:193], v[145:146], v[136:137], -v[149:150]
	v_mul_f64_e32 v[145:146], v[145:146], v[138:139]
	s_delay_alu instid0(VALU_DEP_1)
	v_fma_f64 v[188:189], v[147:148], v[136:137], v[145:146]
	ds_load_b128 v[145:148], v232 offset:10080
	ds_load_b128 v[160:163], v232 offset:11088
	s_clause 0x1
	global_load_b128 v[176:179], v2, s[10:11] offset:544
	global_load_b128 v[172:175], v2, s[10:11] offset:560
	s_wait_loadcnt_dscnt 0x201
	v_mul_f64_e32 v[149:150], v[147:148], v[154:155]
	s_delay_alu instid0(VALU_DEP_1) | instskip(SKIP_1) | instid1(VALU_DEP_1)
	v_fma_f64 v[194:195], v[145:146], v[152:153], -v[149:150]
	v_mul_f64_e32 v[145:146], v[145:146], v[154:155]
	v_fma_f64 v[190:191], v[147:148], v[152:153], v[145:146]
	s_wait_loadcnt 0x1
	v_mul_f64_e32 v[144:145], v[156:157], v[178:179]
	v_mul_f64_e32 v[2:3], v[158:159], v[178:179]
	s_delay_alu instid0(VALU_DEP_2) | instskip(SKIP_2) | instid1(VALU_DEP_3)
	v_fma_f64 v[196:197], v[158:159], v[176:177], v[144:145]
	s_wait_loadcnt_dscnt 0x0
	v_mul_f64_e32 v[144:145], v[162:163], v[174:175]
	v_fma_f64 v[2:3], v[156:157], v[176:177], -v[2:3]
	v_add_f64_e32 v[156:157], v[5:6], v[9:10]
	v_add_f64_e32 v[158:159], v[7:8], v[11:12]
	s_delay_alu instid0(VALU_DEP_4) | instskip(SKIP_1) | instid1(VALU_DEP_1)
	v_fma_f64 v[198:199], v[160:161], v[172:173], -v[144:145]
	v_mul_f64_e32 v[144:145], v[160:161], v[174:175]
	v_fma_f64 v[200:201], v[162:163], v[172:173], v[144:145]
	ds_load_b128 v[144:147], v232
	ds_load_b128 v[148:151], v232 offset:1008
	s_wait_dscnt 0x1
	v_fma_f64 v[156:157], v[156:157], -0.5, v[144:145]
	v_fma_f64 v[158:159], v[158:159], -0.5, v[146:147]
	v_add_f64_e32 v[144:145], v[144:145], v[5:6]
	v_add_f64_e64 v[5:6], v[5:6], -v[9:10]
	v_add_f64_e32 v[146:147], v[146:147], v[7:8]
	v_add_f64_e64 v[7:8], v[7:8], -v[11:12]
	s_delay_alu instid0(VALU_DEP_4) | instskip(NEXT) | instid1(VALU_DEP_4)
	v_add_f64_e32 v[144:145], v[144:145], v[9:10]
	v_fma_f64 v[166:167], v[5:6], s[12:13], v[158:159]
	v_fma_f64 v[170:171], v[5:6], s[2:3], v[158:159]
	v_add_f64_e32 v[5:6], v[13:14], v[182:183]
	v_fma_f64 v[164:165], v[7:8], s[2:3], v[156:157]
	v_fma_f64 v[168:169], v[7:8], s[12:13], v[156:157]
	v_add_f64_e32 v[7:8], v[180:181], v[184:185]
	s_wait_dscnt 0x0
	v_add_f64_e32 v[9:10], v[150:151], v[180:181]
	v_add_f64_e64 v[156:157], v[180:181], -v[184:185]
	v_add_f64_e32 v[146:147], v[146:147], v[11:12]
	v_add_f64_e32 v[11:12], v[148:149], v[13:14]
	v_fma_f64 v[5:6], v[5:6], -0.5, v[148:149]
	v_fma_f64 v[7:8], v[7:8], -0.5, v[150:151]
	v_add_f64_e32 v[150:151], v[9:10], v[184:185]
	v_add_f64_e64 v[9:10], v[13:14], -v[182:183]
	v_add_f64_e64 v[13:14], v[188:189], -v[190:191]
	v_add_f64_e32 v[148:149], v[11:12], v[182:183]
	v_fma_f64 v[180:181], v[156:157], s[2:3], v[5:6]
	v_fma_f64 v[184:185], v[156:157], s[12:13], v[5:6]
	ds_load_b128 v[156:159], v232 offset:2016
	ds_load_b128 v[160:163], v232 offset:3024
	v_add_f64_e32 v[5:6], v[192:193], v[194:195]
	global_wb scope:SCOPE_SE
	s_wait_dscnt 0x0
	v_fma_f64 v[182:183], v[9:10], s[12:13], v[7:8]
	v_fma_f64 v[186:187], v[9:10], s[2:3], v[7:8]
	v_add_f64_e32 v[7:8], v[188:189], v[190:191]
	s_barrier_signal -1
	s_barrier_wait -1
	global_inv scope:SCOPE_SE
	v_add_f64_e32 v[9:10], v[158:159], v[188:189]
	v_add_f64_e32 v[11:12], v[156:157], v[192:193]
	v_fma_f64 v[5:6], v[5:6], -0.5, v[156:157]
	v_fma_f64 v[7:8], v[7:8], -0.5, v[158:159]
	s_delay_alu instid0(VALU_DEP_4)
	v_add_f64_e32 v[190:191], v[9:10], v[190:191]
	v_add_f64_e64 v[9:10], v[192:193], -v[194:195]
	v_add_f64_e32 v[188:189], v[11:12], v[194:195]
	v_add_f64_e32 v[11:12], v[160:161], v[2:3]
	v_fma_f64 v[204:205], v[13:14], s[2:3], v[5:6]
	v_fma_f64 v[156:157], v[13:14], s[12:13], v[5:6]
	v_add_f64_e32 v[5:6], v[2:3], v[198:199]
	v_add_f64_e64 v[2:3], v[2:3], -v[198:199]
	v_add_f64_e64 v[13:14], v[196:197], -v[200:201]
	v_fma_f64 v[206:207], v[9:10], s[12:13], v[7:8]
	v_fma_f64 v[158:159], v[9:10], s[2:3], v[7:8]
	v_add_f64_e32 v[7:8], v[196:197], v[200:201]
	v_add_f64_e32 v[9:10], v[162:163], v[196:197]
	v_fma_f64 v[5:6], v[5:6], -0.5, v[160:161]
	v_add_f64_e32 v[160:161], v[11:12], v[198:199]
	s_delay_alu instid0(VALU_DEP_4) | instskip(NEXT) | instid1(VALU_DEP_4)
	v_fma_f64 v[7:8], v[7:8], -0.5, v[162:163]
	v_add_f64_e32 v[162:163], v[9:10], v[200:201]
	s_delay_alu instid0(VALU_DEP_4) | instskip(SKIP_1) | instid1(VALU_DEP_4)
	v_fma_f64 v[216:217], v[13:14], s[12:13], v[5:6]
	v_fma_f64 v[212:213], v[13:14], s[2:3], v[5:6]
	;; [unrolled: 1-line block ×4, first 2 shown]
	s_wait_alu 0xfffd
	v_cndmask_b32_e64 v2, 0, 0x6c, vcc_lo
	v_cmp_gt_u16_e32 vcc_lo, 45, v0
	v_and_b32_e32 v0, 0xffff, v19
	s_load_b64 s[2:3], s[0:1], 0x38
	v_add_co_u32 v233, s0, s8, v232
	v_add_lshl_u32 v2, v4, v2, 4
	ds_store_b128 v2, v[144:147]
	ds_store_b128 v2, v[164:167] offset:576
	scratch_store_b32 off, v2, off offset:256 ; 4-byte Folded Spill
	ds_store_b128 v2, v[168:171] offset:1152
	v_and_b32_e32 v2, 0xffff, v15
	v_mul_u32_u24_e32 v0, 0x6c, v0
	s_wait_alu 0xf1ff
	v_add_co_ci_u32_e64 v234, null, s9, 0, s0
	s_delay_alu instid0(VALU_DEP_3) | instskip(NEXT) | instid1(VALU_DEP_3)
	v_mul_u32_u24_e32 v2, 0x6c, v2
	v_add_lshl_u32 v5, v0, v20, 4
	s_delay_alu instid0(VALU_DEP_2)
	v_add_lshl_u32 v2, v2, v16, 4
	ds_store_b128 v2, v[148:151]
	ds_store_b128 v2, v[180:183] offset:576
	scratch_store_b32 off, v2, off offset:240 ; 4-byte Folded Spill
	ds_store_b128 v2, v[184:187] offset:1152
	v_and_b32_e32 v2, 0xffff, v17
	s_delay_alu instid0(VALU_DEP_1) | instskip(NEXT) | instid1(VALU_DEP_1)
	v_mul_u32_u24_e32 v2, 0x6c, v2
	v_add_lshl_u32 v4, v2, v18, 4
	ds_store_b128 v4, v[188:191]
	ds_store_b128 v4, v[204:207] offset:576
	scratch_store_b32 off, v4, off offset:236 ; 4-byte Folded Spill
	ds_store_b128 v4, v[156:159] offset:1152
	ds_store_b128 v5, v[160:163]
	ds_store_b128 v5, v[212:215] offset:576
	scratch_store_b32 off, v5, off offset:252 ; 4-byte Folded Spill
	ds_store_b128 v5, v[216:219] offset:1152
	global_wb scope:SCOPE_SE
	s_wait_storecnt_dscnt 0x0
	s_wait_kmcnt 0x0
	s_barrier_signal -1
	s_barrier_wait -1
	global_inv scope:SCOPE_SE
	ds_load_b128 v[208:211], v232
	ds_load_b128 v[192:195], v232 offset:1728
	ds_load_b128 v[188:191], v232 offset:3456
	;; [unrolled: 1-line block ×6, first 2 shown]
	s_and_saveexec_b32 s0, vcc_lo
	s_cbranch_execz .LBB0_3
; %bb.2:
	ds_load_b128 v[204:207], v232 offset:1008
	ds_load_b128 v[156:159], v232 offset:2736
	;; [unrolled: 1-line block ×7, first 2 shown]
.LBB0_3:
	s_wait_alu 0xfffe
	s_or_b32 exec_lo, exec_lo, s0
	v_mad_co_u64_u32 v[2:3], null, 0x60, v255, s[10:11]
	v_subrev_nc_u32_e32 v0, 45, v255
	s_mov_b32 s14, 0xe976ee23
	s_mov_b32 s15, 0xbfe11646
	;; [unrolled: 1-line block ×4, first 2 shown]
	v_cndmask_b32_e32 v0, v0, v1, vcc_lo
	s_clause 0x1
	global_load_b128 v[180:183], v[2:3], off offset:1696
	global_load_b128 v[184:187], v[2:3], off offset:1712
	s_mov_b32 s18, 0xaaaaaaaa
	s_mov_b32 s12, 0x37c3f68c
	;; [unrolled: 1-line block ×3, first 2 shown]
	v_mul_i32_i24_e32 v1, 0x60, v0
	s_mov_b32 s13, 0x3fdc38aa
	s_mov_b32 s22, 0x37e14327
	s_mov_b32 s23, 0x3fe948f6
	s_mov_b32 s24, 0xb247c609
	s_mov_b32 s21, 0xbfe77f67
	s_mov_b32 s25, 0x3fd5d0dc
	s_mov_b32 s27, 0xbfd5d0dc
	s_mov_b32 s26, s24
	s_wait_loadcnt_dscnt 0x105
	v_mul_f64_e32 v[4:5], v[194:195], v[182:183]
	v_mul_f64_e32 v[6:7], v[192:193], v[182:183]
	s_wait_loadcnt_dscnt 0x4
	v_mul_f64_e32 v[8:9], v[190:191], v[186:187]
	v_mul_f64_e32 v[10:11], v[188:189], v[186:187]
	s_delay_alu instid0(VALU_DEP_4) | instskip(NEXT) | instid1(VALU_DEP_4)
	v_fma_f64 v[4:5], v[192:193], v[180:181], -v[4:5]
	v_fma_f64 v[6:7], v[194:195], v[180:181], v[6:7]
	s_delay_alu instid0(VALU_DEP_4) | instskip(NEXT) | instid1(VALU_DEP_4)
	v_fma_f64 v[8:9], v[188:189], v[184:185], -v[8:9]
	v_fma_f64 v[10:11], v[190:191], v[184:185], v[10:11]
	s_clause 0x3
	global_load_b128 v[188:191], v[2:3], off offset:1776
	global_load_b128 v[192:195], v[2:3], off offset:1760
	;; [unrolled: 1-line block ×4, first 2 shown]
	s_wait_loadcnt_dscnt 0x300
	v_mul_f64_e32 v[12:13], v[170:171], v[190:191]
	s_wait_loadcnt 0x1
	v_mul_f64_e32 v[2:3], v[150:151], v[198:199]
	v_mul_f64_e32 v[14:15], v[168:169], v[190:191]
	s_delay_alu instid0(VALU_DEP_3) | instskip(NEXT) | instid1(VALU_DEP_3)
	v_fma_f64 v[12:13], v[168:169], v[188:189], -v[12:13]
	v_fma_f64 v[235:236], v[148:149], v[196:197], -v[2:3]
	v_mul_f64_e32 v[2:3], v[148:149], v[198:199]
	v_mul_f64_e32 v[168:169], v[166:167], v[194:195]
	v_fma_f64 v[14:15], v[170:171], v[188:189], v[14:15]
	s_delay_alu instid0(VALU_DEP_3) | instskip(SKIP_2) | instid1(VALU_DEP_4)
	v_fma_f64 v[237:238], v[150:151], v[196:197], v[2:3]
	s_wait_loadcnt 0x0
	v_mul_f64_e32 v[2:3], v[146:147], v[202:203]
	v_fma_f64 v[228:229], v[164:165], v[192:193], -v[168:169]
	v_mul_f64_e32 v[164:165], v[164:165], v[194:195]
	s_delay_alu instid0(VALU_DEP_3) | instskip(SKIP_1) | instid1(VALU_DEP_3)
	v_fma_f64 v[239:240], v[144:145], v[200:201], -v[2:3]
	v_mul_f64_e32 v[2:3], v[144:145], v[202:203]
	v_fma_f64 v[230:231], v[166:167], v[192:193], v[164:165]
	s_delay_alu instid0(VALU_DEP_2) | instskip(SKIP_3) | instid1(VALU_DEP_2)
	v_fma_f64 v[241:242], v[146:147], v[200:201], v[2:3]
	v_mul_hi_i32_i24_e32 v2, 0x60, v0
	v_add_co_u32 v0, s0, s10, v1
	s_wait_alu 0xf1ff
	v_add_co_ci_u32_e64 v1, s0, s11, v2, s0
	s_clause 0x1
	global_load_b128 v[144:147], v[0:1], off offset:1696
	global_load_b128 v[148:151], v[0:1], off offset:1712
	s_mov_b32 s0, 0x36b3c0b5
	s_mov_b32 s1, 0x3fac98ee
	;; [unrolled: 1-line block ×4, first 2 shown]
	s_wait_alu 0xfffe
	s_mov_b32 s20, s10
	s_wait_loadcnt 0x1
	v_mul_f64_e32 v[2:3], v[158:159], v[146:147]
	s_delay_alu instid0(VALU_DEP_1) | instskip(SKIP_1) | instid1(VALU_DEP_1)
	v_fma_f64 v[243:244], v[156:157], v[144:145], -v[2:3]
	v_mul_f64_e32 v[2:3], v[156:157], v[146:147]
	v_fma_f64 v[245:246], v[158:159], v[144:145], v[2:3]
	s_wait_loadcnt 0x0
	v_mul_f64_e32 v[2:3], v[162:163], v[150:151]
	s_delay_alu instid0(VALU_DEP_1) | instskip(SKIP_1) | instid1(VALU_DEP_1)
	v_fma_f64 v[247:248], v[160:161], v[148:149], -v[2:3]
	v_mul_f64_e32 v[2:3], v[160:161], v[150:151]
	v_fma_f64 v[249:250], v[162:163], v[148:149], v[2:3]
	s_clause 0x3
	global_load_b128 v[156:159], v[0:1], off offset:1776
	global_load_b128 v[160:163], v[0:1], off offset:1760
	;; [unrolled: 1-line block ×4, first 2 shown]
	s_wait_loadcnt 0x3
	v_mul_f64_e32 v[2:3], v[226:227], v[158:159]
	s_wait_loadcnt 0x1
	v_mul_f64_e32 v[0:1], v[214:215], v[166:167]
	s_delay_alu instid0(VALU_DEP_2) | instskip(SKIP_1) | instid1(VALU_DEP_3)
	v_fma_f64 v[251:252], v[224:225], v[156:157], -v[2:3]
	v_mul_f64_e32 v[2:3], v[224:225], v[158:159]
	v_fma_f64 v[20:21], v[212:213], v[164:165], -v[0:1]
	v_mul_f64_e32 v[0:1], v[212:213], v[166:167]
	v_add_f64_e32 v[212:213], v[4:5], v[12:13]
	v_add_f64_e32 v[224:225], v[237:238], v[241:242]
	v_add_f64_e64 v[4:5], v[4:5], -v[12:13]
	v_add_f64_e64 v[12:13], v[241:242], -v[237:238]
	v_fma_f64 v[253:254], v[226:227], v[156:157], v[2:3]
	v_mul_f64_e32 v[2:3], v[222:223], v[162:163]
	v_fma_f64 v[22:23], v[214:215], v[164:165], v[0:1]
	s_wait_loadcnt 0x0
	v_mul_f64_e32 v[0:1], v[218:219], v[170:171]
	v_add_f64_e32 v[214:215], v[8:9], v[228:229]
	v_add_f64_e64 v[8:9], v[8:9], -v[228:229]
	v_add_f64_e64 v[228:229], v[239:240], -v[235:236]
	v_fma_f64 v[16:17], v[220:221], v[160:161], -v[2:3]
	v_mul_f64_e32 v[2:3], v[220:221], v[162:163]
	v_fma_f64 v[24:25], v[216:217], v[168:169], -v[0:1]
	v_mul_f64_e32 v[0:1], v[216:217], v[170:171]
	v_add_f64_e32 v[220:221], v[235:236], v[239:240]
	s_delay_alu instid0(VALU_DEP_4) | instskip(SKIP_1) | instid1(VALU_DEP_4)
	v_fma_f64 v[18:19], v[222:223], v[160:161], v[2:3]
	v_add_f64_e32 v[222:223], v[6:7], v[14:15]
	v_fma_f64 v[26:27], v[218:219], v[168:169], v[0:1]
	v_add_f64_e32 v[0:1], v[214:215], v[212:213]
	v_add_f64_e32 v[218:219], v[10:11], v[230:231]
	v_add_f64_e64 v[10:11], v[10:11], -v[230:231]
	v_add_f64_e64 v[6:7], v[6:7], -v[14:15]
	;; [unrolled: 1-line block ×4, first 2 shown]
	v_add_f64_e32 v[8:9], v[228:229], v[8:9]
	v_add_f64_e64 v[237:238], v[220:221], -v[214:215]
	v_add_f64_e64 v[214:215], v[214:215], -v[212:213]
	v_add_f64_e32 v[216:217], v[220:221], v[0:1]
	v_add_f64_e32 v[0:1], v[218:219], v[222:223]
	v_add_f64_e64 v[239:240], v[224:225], -v[218:219]
	v_add_f64_e64 v[235:236], v[10:11], -v[6:7]
	v_mul_f64_e32 v[14:15], s[14:15], v[14:15]
	v_add_f64_e64 v[241:242], v[218:219], -v[222:223]
	v_add_f64_e32 v[8:9], v[8:9], v[4:5]
	v_mul_f64_e32 v[30:31], s[0:1], v[237:238]
	v_add_f64_e64 v[4:5], v[4:5], -v[228:229]
	v_add_f64_e32 v[226:227], v[224:225], v[0:1]
	v_add_f64_e32 v[0:1], v[208:209], v[216:217]
	v_add_f64_e64 v[208:209], v[12:13], -v[10:11]
	v_add_f64_e32 v[10:11], v[12:13], v[10:11]
	v_fma_f64 v[30:31], v[214:215], s[10:11], -v[30:31]
	v_add_f64_e32 v[2:3], v[210:211], v[226:227]
	v_fma_f64 v[210:211], v[230:231], s[16:17], -v[14:15]
	v_mul_f64_e32 v[28:29], s[14:15], v[208:209]
	v_add_f64_e32 v[10:11], v[10:11], v[6:7]
	v_mul_f64_e32 v[208:209], s[0:1], v[239:240]
	v_fma_f64 v[32:33], v[216:217], s[18:19], v[0:1]
	v_add_f64_e64 v[6:7], v[6:7], -v[12:13]
	v_mul_f64_e32 v[12:13], s[16:17], v[230:231]
	v_fma_f64 v[34:35], v[226:227], s[18:19], v[2:3]
	v_fma_f64 v[218:219], v[8:9], s[12:13], v[210:211]
	v_fma_f64 v[210:211], v[235:236], s[16:17], -v[28:29]
	v_fma_f64 v[208:209], v[241:242], s[10:11], -v[208:209]
	v_add_f64_e32 v[30:31], v[30:31], v[32:33]
	v_fma_f64 v[12:13], v[4:5], s[26:27], -v[12:13]
	v_fma_f64 v[4:5], v[4:5], s[24:25], v[14:15]
	v_fma_f64 v[216:217], v[10:11], s[12:13], v[210:211]
	v_add_f64_e32 v[226:227], v[208:209], v[34:35]
	s_delay_alu instid0(VALU_DEP_4) | instskip(NEXT) | instid1(VALU_DEP_4)
	v_fma_f64 v[12:13], v[8:9], s[12:13], v[12:13]
	v_fma_f64 v[4:5], v[8:9], s[12:13], v[4:5]
	s_delay_alu instid0(VALU_DEP_4)
	v_add_f64_e64 v[208:209], v[30:31], -v[216:217]
	v_add_f64_e32 v[216:217], v[216:217], v[30:31]
	v_add_f64_e64 v[30:31], v[212:213], -v[220:221]
	v_add_f64_e64 v[212:213], v[222:223], -v[224:225]
	v_add_f64_e32 v[210:211], v[218:219], v[226:227]
	v_add_f64_e64 v[218:219], v[226:227], -v[218:219]
	v_mul_f64_e32 v[220:221], s[16:17], v[235:236]
	v_mul_f64_e32 v[30:31], s[22:23], v[30:31]
	;; [unrolled: 1-line block ×3, first 2 shown]
	s_delay_alu instid0(VALU_DEP_3)
	v_fma_f64 v[220:221], v[6:7], s[26:27], -v[220:221]
	v_fma_f64 v[6:7], v[6:7], s[24:25], v[28:29]
	v_add_f64_e32 v[28:29], v[22:23], v[26:27]
	v_fma_f64 v[214:215], v[214:215], s[20:21], -v[30:31]
	v_fma_f64 v[222:223], v[241:242], s[20:21], -v[212:213]
	v_fma_f64 v[14:15], v[239:240], s[0:1], v[212:213]
	v_fma_f64 v[224:225], v[10:11], s[12:13], v[220:221]
	;; [unrolled: 1-line block ×3, first 2 shown]
	v_add_f64_e32 v[214:215], v[214:215], v[32:33]
	v_add_f64_e32 v[226:227], v[222:223], v[34:35]
	;; [unrolled: 1-line block ×4, first 2 shown]
	s_delay_alu instid0(VALU_DEP_4) | instskip(NEXT) | instid1(VALU_DEP_4)
	v_add_f64_e32 v[220:221], v[224:225], v[214:215]
	v_add_f64_e64 v[222:223], v[226:227], -v[12:13]
	v_add_f64_e32 v[226:227], v[12:13], v[226:227]
	v_fma_f64 v[12:13], v[237:238], s[0:1], v[30:31]
	v_add_f64_e64 v[230:231], v[10:11], -v[4:5]
	v_add_f64_e64 v[224:225], v[214:215], -v[224:225]
	v_add_f64_e32 v[237:238], v[4:5], v[10:11]
	v_add_f64_e32 v[4:5], v[243:244], v[251:252]
	v_add_f64_e32 v[8:9], v[12:13], v[32:33]
	v_add_f64_e32 v[12:13], v[245:246], v[253:254]
	s_delay_alu instid0(VALU_DEP_2)
	v_add_f64_e32 v[228:229], v[6:7], v[8:9]
	v_add_f64_e64 v[235:236], v[8:9], -v[6:7]
	v_add_f64_e32 v[6:7], v[247:248], v[16:17]
	v_add_f64_e32 v[8:9], v[20:21], v[24:25]
	;; [unrolled: 1-line block ×3, first 2 shown]
	ds_store_b128 v232, v[0:3]
	ds_store_b128 v232, v[228:231] offset:1728
	ds_store_b128 v232, v[220:223] offset:3456
	;; [unrolled: 1-line block ×6, first 2 shown]
	v_add_f64_e64 v[0:1], v[247:248], -v[16:17]
	v_add_f64_e64 v[2:3], v[24:25], -v[20:21]
	v_add_f64_e32 v[10:11], v[6:7], v[4:5]
	v_add_f64_e64 v[16:17], v[249:250], -v[18:19]
	v_add_f64_e64 v[18:19], v[26:27], -v[22:23]
	;; [unrolled: 1-line block ×6, first 2 shown]
	v_add_f64_e32 v[30:31], v[28:29], v[30:31]
	v_add_f64_e64 v[24:25], v[4:5], -v[8:9]
	v_add_f64_e64 v[4:5], v[12:13], -v[28:29]
	;; [unrolled: 1-line block ×4, first 2 shown]
	v_add_f64_e32 v[6:7], v[2:3], v[0:1]
	v_add_f64_e32 v[10:11], v[8:9], v[10:11]
	v_add_f64_e64 v[8:9], v[2:3], -v[0:1]
	v_add_f64_e64 v[12:13], v[0:1], -v[20:21]
	v_add_f64_e32 v[0:1], v[18:19], v[16:17]
	v_add_f64_e64 v[14:15], v[20:21], -v[2:3]
	v_add_f64_e32 v[214:215], v[206:207], v[30:31]
	v_mul_f64_e32 v[4:5], s[22:23], v[4:5]
	v_add_f64_e32 v[226:227], v[6:7], v[20:21]
	v_add_f64_e64 v[6:7], v[18:19], -v[16:17]
	v_add_f64_e64 v[16:17], v[16:17], -v[22:23]
	v_add_f64_e32 v[212:213], v[204:205], v[10:11]
	v_add_f64_e64 v[18:19], v[22:23], -v[18:19]
	v_add_f64_e32 v[237:238], v[0:1], v[22:23]
	v_mul_f64_e32 v[0:1], s[14:15], v[8:9]
	v_mul_f64_e32 v[2:3], s[16:17], v[12:13]
	v_fma_f64 v[253:254], v[30:31], s[18:19], v[214:215]
	v_mul_f64_e32 v[228:229], s[14:15], v[6:7]
	v_mul_f64_e32 v[230:231], s[16:17], v[16:17]
	;; [unrolled: 1-line block ×3, first 2 shown]
	v_fma_f64 v[251:252], v[10:11], s[18:19], v[212:213]
	v_fma_f64 v[10:11], v[222:223], s[20:21], -v[4:5]
	v_fma_f64 v[8:9], v[14:15], s[24:25], v[0:1]
	v_fma_f64 v[12:13], v[14:15], s[26:27], -v[2:3]
	v_fma_f64 v[4:5], v[235:236], s[0:1], v[4:5]
	v_fma_f64 v[14:15], v[18:19], s[24:25], v[228:229]
	v_fma_f64 v[16:17], v[18:19], s[26:27], -v[230:231]
	v_fma_f64 v[18:19], v[216:217], s[20:21], -v[6:7]
	v_fma_f64 v[6:7], v[218:219], s[0:1], v[6:7]
	v_add_f64_e32 v[249:250], v[10:11], v[253:254]
	v_fma_f64 v[224:225], v[226:227], s[12:13], v[8:9]
	v_fma_f64 v[247:248], v[226:227], s[12:13], v[12:13]
	v_add_f64_e32 v[243:244], v[4:5], v[253:254]
	v_fma_f64 v[220:221], v[237:238], s[12:13], v[14:15]
	v_fma_f64 v[241:242], v[237:238], s[12:13], v[16:17]
	v_add_f64_e32 v[245:246], v[18:19], v[251:252]
	v_add_f64_e32 v[239:240], v[6:7], v[251:252]
	;; [unrolled: 1-line block ×4, first 2 shown]
	s_delay_alu instid0(VALU_DEP_4) | instskip(NEXT) | instid1(VALU_DEP_4)
	v_add_f64_e64 v[204:205], v[245:246], -v[241:242]
	v_add_f64_e64 v[208:209], v[239:240], -v[220:221]
	s_and_saveexec_b32 s14, vcc_lo
	s_cbranch_execz .LBB0_5
; %bb.4:
	v_mul_f64_e32 v[4:5], s[0:1], v[235:236]
	v_mul_f64_e32 v[6:7], s[10:11], v[222:223]
	;; [unrolled: 1-line block ×3, first 2 shown]
	v_add_f64_e64 v[0:1], v[2:3], -v[0:1]
	v_add_f64_e64 v[2:3], v[230:231], -v[228:229]
	v_add_f64_e32 v[216:217], v[220:221], v[239:240]
	v_add_f64_e64 v[4:5], v[6:7], -v[4:5]
	v_mul_f64_e32 v[6:7], s[0:1], v[218:219]
	v_add_f64_e64 v[218:219], v[243:244], -v[224:225]
	s_delay_alu instid0(VALU_DEP_3) | instskip(NEXT) | instid1(VALU_DEP_3)
	v_add_f64_e32 v[4:5], v[4:5], v[253:254]
	v_add_f64_e64 v[6:7], v[8:9], -v[6:7]
	v_mul_f64_e32 v[8:9], s[12:13], v[226:227]
	s_delay_alu instid0(VALU_DEP_2) | instskip(NEXT) | instid1(VALU_DEP_2)
	v_add_f64_e32 v[6:7], v[6:7], v[251:252]
	v_add_f64_e32 v[8:9], v[8:9], v[0:1]
	v_mul_f64_e32 v[0:1], s[12:13], v[237:238]
	s_delay_alu instid0(VALU_DEP_2) | instskip(NEXT) | instid1(VALU_DEP_2)
	v_add_f64_e32 v[222:223], v[8:9], v[4:5]
	v_add_f64_e32 v[10:11], v[0:1], v[2:3]
	v_add_f64_e64 v[2:3], v[249:250], -v[247:248]
	v_add_f64_e32 v[0:1], v[241:242], v[245:246]
	v_add_f64_e64 v[226:227], v[4:5], -v[8:9]
	s_delay_alu instid0(VALU_DEP_4)
	v_add_f64_e64 v[220:221], v[6:7], -v[10:11]
	v_add_f64_e32 v[224:225], v[10:11], v[6:7]
	ds_store_b128 v232, v[212:215] offset:1008
	ds_store_b128 v232, v[216:219] offset:2736
	;; [unrolled: 1-line block ×7, first 2 shown]
.LBB0_5:
	s_wait_alu 0xfffe
	s_or_b32 exec_lo, exec_lo, s14
	global_wb scope:SCOPE_SE
	s_wait_dscnt 0x0
	s_barrier_signal -1
	s_barrier_wait -1
	global_inv scope:SCOPE_SE
	global_load_b128 v[0:3], v[233:234], off offset:12096
	ds_load_b128 v[212:215], v232
	ds_load_b128 v[216:219], v232 offset:1008
	v_lshlrev_b32_e32 v20, 4, v255
	s_add_nc_u64 s[0:1], s[8:9], 0x2f40
	s_mov_b32 s9, 0x3febb67a
	s_wait_loadcnt_dscnt 0x1
	v_mul_f64_e32 v[4:5], v[214:215], v[2:3]
	v_mul_f64_e32 v[2:3], v[212:213], v[2:3]
	s_delay_alu instid0(VALU_DEP_2) | instskip(NEXT) | instid1(VALU_DEP_2)
	v_fma_f64 v[212:213], v[212:213], v[0:1], -v[4:5]
	v_fma_f64 v[214:215], v[214:215], v[0:1], v[2:3]
	global_load_b128 v[0:3], v20, s[0:1] offset:6048
	ds_load_b128 v[220:223], v232 offset:6048
	ds_load_b128 v[224:227], v232 offset:7056
	global_load_b128 v[228:231], v20, s[0:1] offset:5040
	s_wait_loadcnt_dscnt 0x101
	v_mul_f64_e32 v[4:5], v[222:223], v[2:3]
	v_mul_f64_e32 v[2:3], v[220:221], v[2:3]
	s_delay_alu instid0(VALU_DEP_2) | instskip(NEXT) | instid1(VALU_DEP_2)
	v_fma_f64 v[220:221], v[220:221], v[0:1], -v[4:5]
	v_fma_f64 v[222:223], v[222:223], v[0:1], v[2:3]
	s_clause 0x1
	global_load_b128 v[0:3], v20, s[0:1] offset:1008
	global_load_b128 v[233:236], v20, s[0:1] offset:2016
	s_wait_loadcnt 0x1
	v_mul_f64_e32 v[4:5], v[218:219], v[2:3]
	v_mul_f64_e32 v[2:3], v[216:217], v[2:3]
	s_delay_alu instid0(VALU_DEP_2) | instskip(NEXT) | instid1(VALU_DEP_2)
	v_fma_f64 v[216:217], v[216:217], v[0:1], -v[4:5]
	v_fma_f64 v[218:219], v[218:219], v[0:1], v[2:3]
	s_clause 0x1
	global_load_b128 v[0:3], v20, s[0:1] offset:7056
	global_load_b128 v[237:240], v20, s[0:1] offset:8064
	s_wait_loadcnt_dscnt 0x100
	v_mul_f64_e32 v[4:5], v[226:227], v[2:3]
	v_mul_f64_e32 v[2:3], v[224:225], v[2:3]
	s_delay_alu instid0(VALU_DEP_2) | instskip(NEXT) | instid1(VALU_DEP_2)
	v_fma_f64 v[224:225], v[224:225], v[0:1], -v[4:5]
	v_fma_f64 v[226:227], v[226:227], v[0:1], v[2:3]
	ds_load_b128 v[0:3], v232 offset:2016
	ds_load_b128 v[241:244], v232 offset:3024
	s_wait_dscnt 0x1
	v_mul_f64_e32 v[4:5], v[2:3], v[235:236]
	v_mul_f64_e32 v[6:7], v[0:1], v[235:236]
	s_delay_alu instid0(VALU_DEP_2) | instskip(NEXT) | instid1(VALU_DEP_2)
	v_fma_f64 v[0:1], v[0:1], v[233:234], -v[4:5]
	v_fma_f64 v[2:3], v[2:3], v[233:234], v[6:7]
	ds_load_b128 v[233:236], v232 offset:8064
	ds_load_b128 v[245:248], v232 offset:9072
	s_wait_loadcnt_dscnt 0x1
	v_mul_f64_e32 v[4:5], v[235:236], v[239:240]
	v_mul_f64_e32 v[6:7], v[233:234], v[239:240]
	s_delay_alu instid0(VALU_DEP_2) | instskip(NEXT) | instid1(VALU_DEP_2)
	v_fma_f64 v[233:234], v[233:234], v[237:238], -v[4:5]
	v_fma_f64 v[235:236], v[235:236], v[237:238], v[6:7]
	s_clause 0x1
	global_load_b128 v[237:240], v20, s[0:1] offset:3024
	global_load_b128 v[249:252], v20, s[0:1] offset:4032
	s_wait_loadcnt 0x1
	v_mul_f64_e32 v[4:5], v[243:244], v[239:240]
	v_mul_f64_e32 v[6:7], v[241:242], v[239:240]
	s_delay_alu instid0(VALU_DEP_2) | instskip(NEXT) | instid1(VALU_DEP_2)
	v_fma_f64 v[239:240], v[241:242], v[237:238], -v[4:5]
	v_fma_f64 v[241:242], v[243:244], v[237:238], v[6:7]
	s_clause 0x1
	global_load_b128 v[4:7], v20, s[0:1] offset:9072
	global_load_b128 v[8:11], v20, s[0:1] offset:10080
	s_wait_loadcnt_dscnt 0x100
	v_mul_f64_e32 v[12:13], v[247:248], v[6:7]
	v_mul_f64_e32 v[6:7], v[245:246], v[6:7]
	s_delay_alu instid0(VALU_DEP_2) | instskip(NEXT) | instid1(VALU_DEP_2)
	v_fma_f64 v[243:244], v[245:246], v[4:5], -v[12:13]
	v_fma_f64 v[245:246], v[247:248], v[4:5], v[6:7]
	ds_load_b128 v[4:7], v232 offset:4032
	ds_load_b128 v[12:15], v232 offset:5040
	s_wait_dscnt 0x1
	v_mul_f64_e32 v[16:17], v[6:7], v[251:252]
	v_mul_f64_e32 v[18:19], v[4:5], v[251:252]
	s_delay_alu instid0(VALU_DEP_2) | instskip(NEXT) | instid1(VALU_DEP_2)
	v_fma_f64 v[4:5], v[4:5], v[249:250], -v[16:17]
	v_fma_f64 v[6:7], v[6:7], v[249:250], v[18:19]
	ds_load_b128 v[247:250], v232 offset:10080
	ds_load_b128 v[251:254], v232 offset:11088
	s_wait_loadcnt_dscnt 0x1
	v_mul_f64_e32 v[16:17], v[249:250], v[10:11]
	v_mul_f64_e32 v[10:11], v[247:248], v[10:11]
	s_delay_alu instid0(VALU_DEP_2) | instskip(NEXT) | instid1(VALU_DEP_2)
	v_fma_f64 v[247:248], v[247:248], v[8:9], -v[16:17]
	v_fma_f64 v[249:250], v[249:250], v[8:9], v[10:11]
	v_mul_f64_e32 v[8:9], v[14:15], v[230:231]
	v_mul_f64_e32 v[10:11], v[12:13], v[230:231]
	s_delay_alu instid0(VALU_DEP_2) | instskip(NEXT) | instid1(VALU_DEP_2)
	v_fma_f64 v[8:9], v[12:13], v[228:229], -v[8:9]
	v_fma_f64 v[10:11], v[14:15], v[228:229], v[10:11]
	global_load_b128 v[12:15], v20, s[0:1] offset:11088
	s_mov_b32 s0, 0xe8584caa
	s_mov_b32 s1, 0xbfebb67a
	s_wait_alu 0xfffe
	s_mov_b32 s8, s0
	s_wait_loadcnt_dscnt 0x0
	v_mul_f64_e32 v[16:17], v[253:254], v[14:15]
	v_mul_f64_e32 v[14:15], v[251:252], v[14:15]
	s_delay_alu instid0(VALU_DEP_2) | instskip(NEXT) | instid1(VALU_DEP_2)
	v_fma_f64 v[228:229], v[251:252], v[12:13], -v[16:17]
	v_fma_f64 v[230:231], v[253:254], v[12:13], v[14:15]
	ds_store_b128 v232, v[212:215]
	ds_store_b128 v232, v[216:219] offset:1008
	ds_store_b128 v232, v[220:223] offset:6048
	;; [unrolled: 1-line block ×11, first 2 shown]
	global_wb scope:SCOPE_SE
	s_wait_dscnt 0x0
	s_barrier_signal -1
	s_barrier_wait -1
	global_inv scope:SCOPE_SE
	ds_load_b128 v[0:3], v232 offset:6048
	ds_load_b128 v[4:7], v232
	ds_load_b128 v[8:11], v232 offset:1008
	ds_load_b128 v[12:15], v232 offset:7056
	v_lshlrev_b32_e32 v16, 5, v255
	ds_load_b128 v[212:215], v232 offset:2016
	ds_load_b128 v[216:219], v232 offset:3024
	;; [unrolled: 1-line block ×8, first 2 shown]
	global_wb scope:SCOPE_SE
	s_wait_dscnt 0x0
	s_barrier_signal -1
	s_barrier_wait -1
	global_inv scope:SCOPE_SE
	v_add_f64_e64 v[0:1], v[4:5], -v[0:1]
	v_add_f64_e64 v[2:3], v[6:7], -v[2:3]
	s_delay_alu instid0(VALU_DEP_2) | instskip(NEXT) | instid1(VALU_DEP_2)
	v_fma_f64 v[4:5], v[4:5], 2.0, -v[0:1]
	v_fma_f64 v[6:7], v[6:7], 2.0, -v[2:3]
	ds_store_b128 v16, v[0:3] offset:16
	ds_store_b128 v16, v[4:7]
	v_add_f64_e64 v[0:1], v[8:9], -v[12:13]
	v_add_f64_e64 v[2:3], v[10:11], -v[14:15]
	s_delay_alu instid0(VALU_DEP_2)
	v_fma_f64 v[4:5], v[8:9], 2.0, -v[0:1]
	scratch_load_b32 v8, off, off offset:184 th:TH_LOAD_LU ; 4-byte Folded Reload
	v_fma_f64 v[6:7], v[10:11], 2.0, -v[2:3]
	s_wait_loadcnt 0x0
	ds_store_b128 v8, v[4:7]
	ds_store_b128 v8, v[0:3] offset:16
	scratch_load_b32 v8, off, off offset:180 th:TH_LOAD_LU ; 4-byte Folded Reload
	v_add_f64_e64 v[0:1], v[212:213], -v[220:221]
	v_add_f64_e64 v[2:3], v[214:215], -v[222:223]
	s_delay_alu instid0(VALU_DEP_2) | instskip(NEXT) | instid1(VALU_DEP_2)
	v_fma_f64 v[4:5], v[212:213], 2.0, -v[0:1]
	v_fma_f64 v[6:7], v[214:215], 2.0, -v[2:3]
	s_wait_loadcnt 0x0
	ds_store_b128 v8, v[4:7]
	ds_store_b128 v8, v[0:3] offset:16
	scratch_load_b32 v8, off, off offset:176 th:TH_LOAD_LU ; 4-byte Folded Reload
	v_add_f64_e64 v[0:1], v[216:217], -v[224:225]
	v_add_f64_e64 v[2:3], v[218:219], -v[226:227]
	s_delay_alu instid0(VALU_DEP_2) | instskip(NEXT) | instid1(VALU_DEP_2)
	v_fma_f64 v[4:5], v[216:217], 2.0, -v[0:1]
	v_fma_f64 v[6:7], v[218:219], 2.0, -v[2:3]
	s_wait_loadcnt 0x0
	ds_store_b128 v8, v[4:7]
	ds_store_b128 v8, v[0:3] offset:16
	scratch_load_b32 v8, off, off offset:172 th:TH_LOAD_LU ; 4-byte Folded Reload
	v_add_f64_e64 v[0:1], v[228:229], -v[237:238]
	v_add_f64_e64 v[2:3], v[230:231], -v[239:240]
	s_delay_alu instid0(VALU_DEP_2) | instskip(NEXT) | instid1(VALU_DEP_2)
	v_fma_f64 v[4:5], v[228:229], 2.0, -v[0:1]
	v_fma_f64 v[6:7], v[230:231], 2.0, -v[2:3]
	s_wait_loadcnt 0x0
	ds_store_b128 v8, v[4:7]
	ds_store_b128 v8, v[0:3] offset:16
	scratch_load_b32 v8, off, off offset:168 th:TH_LOAD_LU ; 4-byte Folded Reload
	v_add_f64_e64 v[0:1], v[233:234], -v[241:242]
	v_add_f64_e64 v[2:3], v[235:236], -v[243:244]
	s_delay_alu instid0(VALU_DEP_2) | instskip(NEXT) | instid1(VALU_DEP_2)
	v_fma_f64 v[4:5], v[233:234], 2.0, -v[0:1]
	v_fma_f64 v[6:7], v[235:236], 2.0, -v[2:3]
	s_wait_loadcnt 0x0
	ds_store_b128 v8, v[4:7]
	ds_store_b128 v8, v[0:3] offset:16
	global_wb scope:SCOPE_SE
	s_wait_dscnt 0x0
	s_barrier_signal -1
	s_barrier_wait -1
	global_inv scope:SCOPE_SE
	ds_load_b128 v[0:3], v232 offset:9072
	ds_load_b128 v[4:7], v232 offset:8064
	s_wait_dscnt 0x1
	v_mul_f64_e32 v[8:9], v[58:59], v[2:3]
	s_delay_alu instid0(VALU_DEP_1) | instskip(SKIP_1) | instid1(VALU_DEP_1)
	v_fma_f64 v[16:17], v[56:57], v[0:1], v[8:9]
	v_mul_f64_e32 v[0:1], v[58:59], v[0:1]
	v_fma_f64 v[18:19], v[56:57], v[2:3], -v[0:1]
	ds_load_b128 v[0:3], v232 offset:6048
	ds_load_b128 v[8:11], v232 offset:7056
	s_wait_dscnt 0x1
	v_mul_f64_e32 v[12:13], v[50:51], v[2:3]
	s_delay_alu instid0(VALU_DEP_1) | instskip(SKIP_1) | instid1(VALU_DEP_1)
	v_fma_f64 v[12:13], v[48:49], v[0:1], v[12:13]
	v_mul_f64_e32 v[0:1], v[50:51], v[0:1]
	v_fma_f64 v[14:15], v[48:49], v[2:3], -v[0:1]
	v_mul_f64_e32 v[0:1], v[50:51], v[6:7]
	s_delay_alu instid0(VALU_DEP_1) | instskip(SKIP_1) | instid1(VALU_DEP_1)
	v_fma_f64 v[20:21], v[48:49], v[4:5], v[0:1]
	v_mul_f64_e32 v[0:1], v[50:51], v[4:5]
	v_fma_f64 v[22:23], v[48:49], v[6:7], -v[0:1]
	ds_load_b128 v[0:3], v232 offset:10080
	ds_load_b128 v[4:7], v232 offset:11088
	s_wait_dscnt 0x1
	v_mul_f64_e32 v[24:25], v[50:51], v[2:3]
	s_delay_alu instid0(VALU_DEP_1) | instskip(SKIP_1) | instid1(VALU_DEP_1)
	v_fma_f64 v[24:25], v[48:49], v[0:1], v[24:25]
	v_mul_f64_e32 v[0:1], v[50:51], v[0:1]
	v_fma_f64 v[26:27], v[48:49], v[2:3], -v[0:1]
	scratch_load_b64 v[2:3], off, off offset:160 th:TH_LOAD_LU ; 8-byte Folded Reload
	s_wait_loadcnt_dscnt 0x0
	v_mul_f64_e32 v[0:1], v[2:3], v[6:7]
	v_mul_f64_e32 v[2:3], v[2:3], v[4:5]
	s_delay_alu instid0(VALU_DEP_2)
	v_fma_f64 v[28:29], v[52:53], v[4:5], v[0:1]
	scratch_load_b64 v[4:5], off, off offset:152 th:TH_LOAD_LU ; 8-byte Folded Reload
	v_fma_f64 v[30:31], v[52:53], v[6:7], -v[2:3]
	v_mul_f64_e32 v[0:1], v[54:55], v[10:11]
	v_mul_f64_e32 v[2:3], v[54:55], v[8:9]
	s_wait_loadcnt 0x0
	s_delay_alu instid0(VALU_DEP_2) | instskip(NEXT) | instid1(VALU_DEP_2)
	v_fma_f64 v[32:33], v[4:5], v[8:9], v[0:1]
	v_fma_f64 v[34:35], v[4:5], v[10:11], -v[2:3]
	ds_load_b128 v[0:3], v232
	ds_load_b128 v[4:7], v232 offset:1008
	s_wait_dscnt 0x1
	v_add_f64_e64 v[8:9], v[0:1], -v[12:13]
	v_add_f64_e64 v[10:11], v[2:3], -v[14:15]
	ds_load_b128 v[12:15], v232 offset:2016
	ds_load_b128 v[48:51], v232 offset:3024
	;; [unrolled: 1-line block ×4, first 2 shown]
	global_wb scope:SCOPE_SE
	s_wait_dscnt 0x0
	s_barrier_signal -1
	s_barrier_wait -1
	global_inv scope:SCOPE_SE
	scratch_load_b32 v212, off, off offset:204 th:TH_LOAD_LU ; 4-byte Folded Reload
	v_fma_f64 v[0:1], v[0:1], 2.0, -v[8:9]
	v_fma_f64 v[2:3], v[2:3], 2.0, -v[10:11]
	s_wait_loadcnt 0x0
	ds_store_b128 v212, v[8:11] offset:32
	ds_store_b128 v212, v[0:3]
	scratch_load_b32 v8, off, off offset:208 th:TH_LOAD_LU ; 4-byte Folded Reload
	v_add_f64_e64 v[0:1], v[4:5], -v[32:33]
	v_add_f64_e64 v[2:3], v[6:7], -v[34:35]
	s_delay_alu instid0(VALU_DEP_2) | instskip(NEXT) | instid1(VALU_DEP_2)
	v_fma_f64 v[4:5], v[4:5], 2.0, -v[0:1]
	v_fma_f64 v[6:7], v[6:7], 2.0, -v[2:3]
	s_wait_loadcnt 0x0
	ds_store_b128 v8, v[4:7]
	ds_store_b128 v8, v[0:3] offset:32
	scratch_load_b32 v8, off, off offset:200 th:TH_LOAD_LU ; 4-byte Folded Reload
	v_add_f64_e64 v[0:1], v[12:13], -v[20:21]
	v_add_f64_e64 v[2:3], v[14:15], -v[22:23]
	s_delay_alu instid0(VALU_DEP_2) | instskip(NEXT) | instid1(VALU_DEP_2)
	v_fma_f64 v[4:5], v[12:13], 2.0, -v[0:1]
	v_fma_f64 v[6:7], v[14:15], 2.0, -v[2:3]
	s_wait_loadcnt 0x0
	ds_store_b128 v8, v[4:7]
	ds_store_b128 v8, v[0:3] offset:32
	;; [unrolled: 9-line block ×5, first 2 shown]
	global_wb scope:SCOPE_SE
	s_wait_dscnt 0x0
	s_barrier_signal -1
	s_barrier_wait -1
	global_inv scope:SCOPE_SE
	ds_load_b128 v[0:3], v232 offset:4032
	ds_load_b128 v[4:7], v232 offset:5040
	s_wait_dscnt 0x1
	v_mul_f64_e32 v[8:9], v[62:63], v[2:3]
	s_delay_alu instid0(VALU_DEP_1) | instskip(SKIP_1) | instid1(VALU_DEP_1)
	v_fma_f64 v[12:13], v[60:61], v[0:1], v[8:9]
	v_mul_f64_e32 v[0:1], v[62:63], v[0:1]
	v_fma_f64 v[14:15], v[60:61], v[2:3], -v[0:1]
	ds_load_b128 v[0:3], v232 offset:8064
	ds_load_b128 v[8:11], v232 offset:9072
	s_wait_dscnt 0x1
	v_mul_f64_e32 v[16:17], v[66:67], v[2:3]
	s_delay_alu instid0(VALU_DEP_1) | instskip(SKIP_1) | instid1(VALU_DEP_1)
	v_fma_f64 v[16:17], v[64:65], v[0:1], v[16:17]
	v_mul_f64_e32 v[0:1], v[66:67], v[0:1]
	v_fma_f64 v[18:19], v[64:65], v[2:3], -v[0:1]
	v_mul_f64_e32 v[0:1], v[82:83], v[6:7]
	s_delay_alu instid0(VALU_DEP_1) | instskip(SKIP_1) | instid1(VALU_DEP_1)
	v_fma_f64 v[20:21], v[80:81], v[4:5], v[0:1]
	v_mul_f64_e32 v[0:1], v[82:83], v[4:5]
	v_fma_f64 v[22:23], v[80:81], v[6:7], -v[0:1]
	s_wait_dscnt 0x0
	v_mul_f64_e32 v[0:1], v[78:79], v[10:11]
	s_delay_alu instid0(VALU_DEP_1) | instskip(SKIP_1) | instid1(VALU_DEP_1)
	v_fma_f64 v[24:25], v[76:77], v[8:9], v[0:1]
	v_mul_f64_e32 v[0:1], v[78:79], v[8:9]
	v_fma_f64 v[26:27], v[76:77], v[10:11], -v[0:1]
	ds_load_b128 v[0:3], v232 offset:6048
	ds_load_b128 v[4:7], v232 offset:7056
	s_wait_dscnt 0x1
	v_mul_f64_e32 v[8:9], v[74:75], v[2:3]
	s_delay_alu instid0(VALU_DEP_1) | instskip(SKIP_1) | instid1(VALU_DEP_1)
	v_fma_f64 v[28:29], v[72:73], v[0:1], v[8:9]
	v_mul_f64_e32 v[0:1], v[74:75], v[0:1]
	v_fma_f64 v[30:31], v[72:73], v[2:3], -v[0:1]
	ds_load_b128 v[0:3], v232 offset:10080
	ds_load_b128 v[8:11], v232 offset:11088
	s_wait_dscnt 0x1
	v_mul_f64_e32 v[32:33], v[70:71], v[2:3]
	s_delay_alu instid0(VALU_DEP_1) | instskip(SKIP_1) | instid1(VALU_DEP_1)
	v_fma_f64 v[32:33], v[68:69], v[0:1], v[32:33]
	v_mul_f64_e32 v[0:1], v[70:71], v[0:1]
	v_fma_f64 v[34:35], v[68:69], v[2:3], -v[0:1]
	v_mul_f64_e32 v[0:1], v[90:91], v[6:7]
	s_delay_alu instid0(VALU_DEP_1) | instskip(SKIP_1) | instid1(VALU_DEP_1)
	v_fma_f64 v[56:57], v[88:89], v[4:5], v[0:1]
	v_mul_f64_e32 v[0:1], v[90:91], v[4:5]
	v_fma_f64 v[58:59], v[88:89], v[6:7], -v[0:1]
	s_wait_dscnt 0x0
	v_mul_f64_e32 v[0:1], v[86:87], v[10:11]
	s_delay_alu instid0(VALU_DEP_1) | instskip(SKIP_2) | instid1(VALU_DEP_2)
	v_fma_f64 v[60:61], v[84:85], v[8:9], v[0:1]
	v_mul_f64_e32 v[0:1], v[86:87], v[8:9]
	v_add_f64_e32 v[8:9], v[12:13], v[16:17]
	v_fma_f64 v[62:63], v[84:85], v[10:11], -v[0:1]
	ds_load_b128 v[0:3], v232
	ds_load_b128 v[4:7], v232 offset:1008
	s_wait_dscnt 0x1
	v_fma_f64 v[10:11], v[8:9], -0.5, v[0:1]
	v_add_f64_e32 v[8:9], v[14:15], v[18:19]
	v_add_f64_e32 v[0:1], v[0:1], v[12:13]
	s_delay_alu instid0(VALU_DEP_2) | instskip(SKIP_2) | instid1(VALU_DEP_4)
	v_fma_f64 v[48:49], v[8:9], -0.5, v[2:3]
	v_add_f64_e32 v[2:3], v[2:3], v[14:15]
	v_add_f64_e64 v[14:15], v[14:15], -v[18:19]
	v_add_f64_e32 v[0:1], v[0:1], v[16:17]
	v_add_f64_e64 v[16:17], v[12:13], -v[16:17]
	s_delay_alu instid0(VALU_DEP_4) | instskip(NEXT) | instid1(VALU_DEP_4)
	v_add_f64_e32 v[2:3], v[2:3], v[18:19]
	v_fma_f64 v[8:9], v[14:15], s[0:1], v[10:11]
	s_wait_alu 0xfffe
	v_fma_f64 v[12:13], v[14:15], s[8:9], v[10:11]
	s_delay_alu instid0(VALU_DEP_4)
	v_fma_f64 v[10:11], v[16:17], s[8:9], v[48:49]
	v_fma_f64 v[14:15], v[16:17], s[0:1], v[48:49]
	ds_load_b128 v[48:51], v232 offset:2016
	ds_load_b128 v[52:55], v232 offset:3024
	global_wb scope:SCOPE_SE
	s_wait_dscnt 0x0
	s_barrier_signal -1
	s_barrier_wait -1
	global_inv scope:SCOPE_SE
	scratch_load_b32 v16, off, off offset:220 th:TH_LOAD_LU ; 4-byte Folded Reload
	s_wait_loadcnt 0x0
	ds_store_b128 v16, v[0:3]
	ds_store_b128 v16, v[8:11] offset:64
	ds_store_b128 v16, v[12:15] offset:128
	v_add_f64_e32 v[0:1], v[20:21], v[24:25]
	v_add_f64_e64 v[12:13], v[20:21], -v[24:25]
	s_delay_alu instid0(VALU_DEP_2) | instskip(SKIP_2) | instid1(VALU_DEP_2)
	v_fma_f64 v[8:9], v[0:1], -0.5, v[4:5]
	v_add_f64_e32 v[0:1], v[22:23], v[26:27]
	v_add_f64_e32 v[4:5], v[4:5], v[20:21]
	v_fma_f64 v[10:11], v[0:1], -0.5, v[6:7]
	v_add_f64_e32 v[0:1], v[6:7], v[22:23]
	v_add_f64_e64 v[6:7], v[22:23], -v[26:27]
	s_delay_alu instid0(VALU_DEP_2) | instskip(SKIP_1) | instid1(VALU_DEP_3)
	v_add_f64_e32 v[2:3], v[0:1], v[26:27]
	v_add_f64_e32 v[0:1], v[4:5], v[24:25]
	v_fma_f64 v[4:5], v[6:7], s[0:1], v[8:9]
	v_fma_f64 v[8:9], v[6:7], s[8:9], v[8:9]
	;; [unrolled: 1-line block ×4, first 2 shown]
	scratch_load_b32 v12, off, off offset:224 th:TH_LOAD_LU ; 4-byte Folded Reload
	s_wait_loadcnt 0x0
	ds_store_b128 v12, v[0:3]
	ds_store_b128 v12, v[4:7] offset:64
	ds_store_b128 v12, v[8:11] offset:128
	v_add_f64_e32 v[0:1], v[28:29], v[32:33]
	v_add_f64_e32 v[4:5], v[48:49], v[28:29]
	v_add_f64_e64 v[8:9], v[30:31], -v[34:35]
	v_add_f64_e64 v[12:13], v[28:29], -v[32:33]
	s_delay_alu instid0(VALU_DEP_4) | instskip(SKIP_1) | instid1(VALU_DEP_1)
	v_fma_f64 v[6:7], v[0:1], -0.5, v[48:49]
	v_add_f64_e32 v[0:1], v[30:31], v[34:35]
	v_fma_f64 v[10:11], v[0:1], -0.5, v[50:51]
	v_add_f64_e32 v[0:1], v[50:51], v[30:31]
	s_delay_alu instid0(VALU_DEP_1)
	v_add_f64_e32 v[2:3], v[0:1], v[34:35]
	v_add_f64_e32 v[0:1], v[4:5], v[32:33]
	v_fma_f64 v[4:5], v[8:9], s[0:1], v[6:7]
	v_fma_f64 v[8:9], v[8:9], s[8:9], v[6:7]
	;; [unrolled: 1-line block ×4, first 2 shown]
	scratch_load_b32 v12, off, off offset:216 th:TH_LOAD_LU ; 4-byte Folded Reload
	s_wait_loadcnt 0x0
	ds_store_b128 v12, v[0:3]
	ds_store_b128 v12, v[4:7] offset:64
	ds_store_b128 v12, v[8:11] offset:128
	v_add_f64_e32 v[0:1], v[56:57], v[60:61]
	v_add_f64_e32 v[4:5], v[52:53], v[56:57]
	v_add_f64_e64 v[8:9], v[58:59], -v[62:63]
	v_add_f64_e64 v[12:13], v[56:57], -v[60:61]
	s_delay_alu instid0(VALU_DEP_4) | instskip(SKIP_1) | instid1(VALU_DEP_1)
	v_fma_f64 v[6:7], v[0:1], -0.5, v[52:53]
	v_add_f64_e32 v[0:1], v[58:59], v[62:63]
	v_fma_f64 v[10:11], v[0:1], -0.5, v[54:55]
	v_add_f64_e32 v[0:1], v[54:55], v[58:59]
	s_delay_alu instid0(VALU_DEP_1)
	v_add_f64_e32 v[2:3], v[0:1], v[62:63]
	v_add_f64_e32 v[0:1], v[4:5], v[60:61]
	v_fma_f64 v[4:5], v[8:9], s[0:1], v[6:7]
	v_fma_f64 v[8:9], v[8:9], s[8:9], v[6:7]
	;; [unrolled: 1-line block ×4, first 2 shown]
	scratch_load_b32 v12, off, off offset:212 th:TH_LOAD_LU ; 4-byte Folded Reload
	s_wait_loadcnt 0x0
	ds_store_b128 v12, v[0:3]
	ds_store_b128 v12, v[4:7] offset:64
	ds_store_b128 v12, v[8:11] offset:128
	global_wb scope:SCOPE_SE
	s_wait_dscnt 0x0
	s_barrier_signal -1
	s_barrier_wait -1
	global_inv scope:SCOPE_SE
	ds_load_b128 v[0:3], v232 offset:4032
	ds_load_b128 v[4:7], v232 offset:5040
	s_wait_dscnt 0x1
	v_mul_f64_e32 v[8:9], v[94:95], v[2:3]
	s_delay_alu instid0(VALU_DEP_1) | instskip(SKIP_1) | instid1(VALU_DEP_1)
	v_fma_f64 v[12:13], v[92:93], v[0:1], v[8:9]
	v_mul_f64_e32 v[0:1], v[94:95], v[0:1]
	v_fma_f64 v[14:15], v[92:93], v[2:3], -v[0:1]
	ds_load_b128 v[0:3], v232 offset:8064
	ds_load_b128 v[8:11], v232 offset:9072
	s_wait_dscnt 0x1
	v_mul_f64_e32 v[16:17], v[98:99], v[2:3]
	s_delay_alu instid0(VALU_DEP_1) | instskip(SKIP_1) | instid1(VALU_DEP_1)
	v_fma_f64 v[16:17], v[96:97], v[0:1], v[16:17]
	v_mul_f64_e32 v[0:1], v[98:99], v[0:1]
	v_fma_f64 v[18:19], v[96:97], v[2:3], -v[0:1]
	v_mul_f64_e32 v[0:1], v[114:115], v[6:7]
	s_delay_alu instid0(VALU_DEP_1) | instskip(SKIP_1) | instid1(VALU_DEP_1)
	v_fma_f64 v[20:21], v[112:113], v[4:5], v[0:1]
	v_mul_f64_e32 v[0:1], v[114:115], v[4:5]
	v_fma_f64 v[22:23], v[112:113], v[6:7], -v[0:1]
	s_wait_dscnt 0x0
	v_mul_f64_e32 v[0:1], v[106:107], v[10:11]
	s_delay_alu instid0(VALU_DEP_1) | instskip(SKIP_1) | instid1(VALU_DEP_1)
	v_fma_f64 v[24:25], v[104:105], v[8:9], v[0:1]
	v_mul_f64_e32 v[0:1], v[106:107], v[8:9]
	v_fma_f64 v[26:27], v[104:105], v[10:11], -v[0:1]
	ds_load_b128 v[0:3], v232 offset:6048
	ds_load_b128 v[4:7], v232 offset:7056
	s_wait_dscnt 0x1
	v_mul_f64_e32 v[8:9], v[110:111], v[2:3]
	s_delay_alu instid0(VALU_DEP_1) | instskip(SKIP_1) | instid1(VALU_DEP_1)
	v_fma_f64 v[28:29], v[108:109], v[0:1], v[8:9]
	v_mul_f64_e32 v[0:1], v[110:111], v[0:1]
	v_fma_f64 v[30:31], v[108:109], v[2:3], -v[0:1]
	ds_load_b128 v[0:3], v232 offset:10080
	ds_load_b128 v[8:11], v232 offset:11088
	s_wait_dscnt 0x1
	v_mul_f64_e32 v[32:33], v[102:103], v[2:3]
	s_delay_alu instid0(VALU_DEP_1) | instskip(SKIP_1) | instid1(VALU_DEP_1)
	v_fma_f64 v[32:33], v[100:101], v[0:1], v[32:33]
	v_mul_f64_e32 v[0:1], v[102:103], v[0:1]
	v_fma_f64 v[34:35], v[100:101], v[2:3], -v[0:1]
	v_mul_f64_e32 v[0:1], v[122:123], v[6:7]
	s_delay_alu instid0(VALU_DEP_1) | instskip(SKIP_1) | instid1(VALU_DEP_1)
	v_fma_f64 v[56:57], v[120:121], v[4:5], v[0:1]
	v_mul_f64_e32 v[0:1], v[122:123], v[4:5]
	v_fma_f64 v[58:59], v[120:121], v[6:7], -v[0:1]
	s_wait_dscnt 0x0
	v_mul_f64_e32 v[0:1], v[118:119], v[10:11]
	s_delay_alu instid0(VALU_DEP_1) | instskip(SKIP_2) | instid1(VALU_DEP_2)
	v_fma_f64 v[60:61], v[116:117], v[8:9], v[0:1]
	v_mul_f64_e32 v[0:1], v[118:119], v[8:9]
	v_add_f64_e32 v[8:9], v[12:13], v[16:17]
	v_fma_f64 v[62:63], v[116:117], v[10:11], -v[0:1]
	ds_load_b128 v[0:3], v232
	ds_load_b128 v[4:7], v232 offset:1008
	s_wait_dscnt 0x1
	v_fma_f64 v[10:11], v[8:9], -0.5, v[0:1]
	v_add_f64_e32 v[8:9], v[14:15], v[18:19]
	v_add_f64_e32 v[0:1], v[0:1], v[12:13]
	s_delay_alu instid0(VALU_DEP_2) | instskip(SKIP_2) | instid1(VALU_DEP_4)
	v_fma_f64 v[48:49], v[8:9], -0.5, v[2:3]
	v_add_f64_e32 v[2:3], v[2:3], v[14:15]
	v_add_f64_e64 v[14:15], v[14:15], -v[18:19]
	v_add_f64_e32 v[0:1], v[0:1], v[16:17]
	v_add_f64_e64 v[16:17], v[12:13], -v[16:17]
	s_delay_alu instid0(VALU_DEP_4) | instskip(NEXT) | instid1(VALU_DEP_4)
	v_add_f64_e32 v[2:3], v[2:3], v[18:19]
	v_fma_f64 v[8:9], v[14:15], s[0:1], v[10:11]
	v_fma_f64 v[12:13], v[14:15], s[8:9], v[10:11]
	s_delay_alu instid0(VALU_DEP_4)
	v_fma_f64 v[10:11], v[16:17], s[8:9], v[48:49]
	v_fma_f64 v[14:15], v[16:17], s[0:1], v[48:49]
	ds_load_b128 v[48:51], v232 offset:2016
	ds_load_b128 v[52:55], v232 offset:3024
	global_wb scope:SCOPE_SE
	s_wait_dscnt 0x0
	s_barrier_signal -1
	s_barrier_wait -1
	global_inv scope:SCOPE_SE
	scratch_load_b32 v16, off, off offset:248 th:TH_LOAD_LU ; 4-byte Folded Reload
	s_wait_loadcnt 0x0
	ds_store_b128 v16, v[0:3]
	ds_store_b128 v16, v[8:11] offset:192
	ds_store_b128 v16, v[12:15] offset:384
	v_add_f64_e32 v[0:1], v[20:21], v[24:25]
	v_add_f64_e64 v[12:13], v[20:21], -v[24:25]
	s_delay_alu instid0(VALU_DEP_2) | instskip(SKIP_2) | instid1(VALU_DEP_2)
	v_fma_f64 v[8:9], v[0:1], -0.5, v[4:5]
	v_add_f64_e32 v[0:1], v[22:23], v[26:27]
	v_add_f64_e32 v[4:5], v[4:5], v[20:21]
	v_fma_f64 v[10:11], v[0:1], -0.5, v[6:7]
	v_add_f64_e32 v[0:1], v[6:7], v[22:23]
	v_add_f64_e64 v[6:7], v[22:23], -v[26:27]
	s_delay_alu instid0(VALU_DEP_2) | instskip(SKIP_1) | instid1(VALU_DEP_3)
	v_add_f64_e32 v[2:3], v[0:1], v[26:27]
	v_add_f64_e32 v[0:1], v[4:5], v[24:25]
	v_fma_f64 v[4:5], v[6:7], s[0:1], v[8:9]
	v_fma_f64 v[8:9], v[6:7], s[8:9], v[8:9]
	;; [unrolled: 1-line block ×4, first 2 shown]
	scratch_load_b32 v12, off, off offset:244 th:TH_LOAD_LU ; 4-byte Folded Reload
	s_wait_loadcnt 0x0
	ds_store_b128 v12, v[0:3]
	ds_store_b128 v12, v[4:7] offset:192
	ds_store_b128 v12, v[8:11] offset:384
	v_add_f64_e32 v[0:1], v[28:29], v[32:33]
	v_add_f64_e32 v[4:5], v[48:49], v[28:29]
	v_add_f64_e64 v[8:9], v[30:31], -v[34:35]
	v_add_f64_e64 v[12:13], v[28:29], -v[32:33]
	s_delay_alu instid0(VALU_DEP_4) | instskip(SKIP_1) | instid1(VALU_DEP_1)
	v_fma_f64 v[6:7], v[0:1], -0.5, v[48:49]
	v_add_f64_e32 v[0:1], v[30:31], v[34:35]
	v_fma_f64 v[10:11], v[0:1], -0.5, v[50:51]
	v_add_f64_e32 v[0:1], v[50:51], v[30:31]
	s_delay_alu instid0(VALU_DEP_1)
	v_add_f64_e32 v[2:3], v[0:1], v[34:35]
	v_add_f64_e32 v[0:1], v[4:5], v[32:33]
	v_fma_f64 v[4:5], v[8:9], s[0:1], v[6:7]
	v_fma_f64 v[8:9], v[8:9], s[8:9], v[6:7]
	;; [unrolled: 1-line block ×4, first 2 shown]
	scratch_load_b32 v12, off, off offset:232 th:TH_LOAD_LU ; 4-byte Folded Reload
	s_wait_loadcnt 0x0
	ds_store_b128 v12, v[0:3]
	ds_store_b128 v12, v[4:7] offset:192
	ds_store_b128 v12, v[8:11] offset:384
	v_add_f64_e32 v[0:1], v[56:57], v[60:61]
	v_add_f64_e32 v[4:5], v[52:53], v[56:57]
	v_add_f64_e64 v[8:9], v[58:59], -v[62:63]
	v_add_f64_e64 v[12:13], v[56:57], -v[60:61]
	s_delay_alu instid0(VALU_DEP_4) | instskip(SKIP_1) | instid1(VALU_DEP_1)
	v_fma_f64 v[6:7], v[0:1], -0.5, v[52:53]
	v_add_f64_e32 v[0:1], v[58:59], v[62:63]
	v_fma_f64 v[10:11], v[0:1], -0.5, v[54:55]
	v_add_f64_e32 v[0:1], v[54:55], v[58:59]
	s_delay_alu instid0(VALU_DEP_1)
	v_add_f64_e32 v[2:3], v[0:1], v[62:63]
	v_add_f64_e32 v[0:1], v[4:5], v[60:61]
	v_fma_f64 v[4:5], v[8:9], s[0:1], v[6:7]
	v_fma_f64 v[8:9], v[8:9], s[8:9], v[6:7]
	;; [unrolled: 1-line block ×4, first 2 shown]
	scratch_load_b32 v12, off, off offset:228 th:TH_LOAD_LU ; 4-byte Folded Reload
	s_wait_loadcnt 0x0
	ds_store_b128 v12, v[0:3]
	ds_store_b128 v12, v[4:7] offset:192
	ds_store_b128 v12, v[8:11] offset:384
	global_wb scope:SCOPE_SE
	s_wait_dscnt 0x0
	s_barrier_signal -1
	s_barrier_wait -1
	global_inv scope:SCOPE_SE
	ds_load_b128 v[0:3], v232 offset:4032
	ds_load_b128 v[4:7], v232 offset:5040
	s_wait_dscnt 0x1
	v_mul_f64_e32 v[8:9], v[126:127], v[2:3]
	s_delay_alu instid0(VALU_DEP_1) | instskip(SKIP_1) | instid1(VALU_DEP_1)
	v_fma_f64 v[12:13], v[124:125], v[0:1], v[8:9]
	v_mul_f64_e32 v[0:1], v[126:127], v[0:1]
	v_fma_f64 v[14:15], v[124:125], v[2:3], -v[0:1]
	ds_load_b128 v[0:3], v232 offset:8064
	ds_load_b128 v[8:11], v232 offset:9072
	s_wait_dscnt 0x1
	v_mul_f64_e32 v[16:17], v[130:131], v[2:3]
	s_delay_alu instid0(VALU_DEP_1) | instskip(SKIP_1) | instid1(VALU_DEP_1)
	v_fma_f64 v[16:17], v[128:129], v[0:1], v[16:17]
	v_mul_f64_e32 v[0:1], v[130:131], v[0:1]
	v_fma_f64 v[18:19], v[128:129], v[2:3], -v[0:1]
	v_mul_f64_e32 v[0:1], v[142:143], v[6:7]
	s_delay_alu instid0(VALU_DEP_1) | instskip(SKIP_1) | instid1(VALU_DEP_1)
	v_fma_f64 v[20:21], v[140:141], v[4:5], v[0:1]
	v_mul_f64_e32 v[0:1], v[142:143], v[4:5]
	v_fma_f64 v[22:23], v[140:141], v[6:7], -v[0:1]
	s_wait_dscnt 0x0
	v_mul_f64_e32 v[0:1], v[134:135], v[10:11]
	s_delay_alu instid0(VALU_DEP_1) | instskip(SKIP_1) | instid1(VALU_DEP_1)
	v_fma_f64 v[24:25], v[132:133], v[8:9], v[0:1]
	v_mul_f64_e32 v[0:1], v[134:135], v[8:9]
	v_fma_f64 v[26:27], v[132:133], v[10:11], -v[0:1]
	ds_load_b128 v[0:3], v232 offset:6048
	ds_load_b128 v[4:7], v232 offset:7056
	s_wait_dscnt 0x1
	v_mul_f64_e32 v[8:9], v[138:139], v[2:3]
	s_delay_alu instid0(VALU_DEP_1) | instskip(SKIP_1) | instid1(VALU_DEP_1)
	v_fma_f64 v[28:29], v[136:137], v[0:1], v[8:9]
	v_mul_f64_e32 v[0:1], v[138:139], v[0:1]
	v_fma_f64 v[30:31], v[136:137], v[2:3], -v[0:1]
	ds_load_b128 v[0:3], v232 offset:10080
	ds_load_b128 v[8:11], v232 offset:11088
	s_wait_dscnt 0x1
	v_mul_f64_e32 v[32:33], v[154:155], v[2:3]
	s_delay_alu instid0(VALU_DEP_1) | instskip(SKIP_1) | instid1(VALU_DEP_1)
	v_fma_f64 v[32:33], v[152:153], v[0:1], v[32:33]
	v_mul_f64_e32 v[0:1], v[154:155], v[0:1]
	v_fma_f64 v[34:35], v[152:153], v[2:3], -v[0:1]
	v_mul_f64_e32 v[0:1], v[178:179], v[6:7]
	s_delay_alu instid0(VALU_DEP_1) | instskip(SKIP_1) | instid1(VALU_DEP_1)
	v_fma_f64 v[60:61], v[176:177], v[4:5], v[0:1]
	v_mul_f64_e32 v[0:1], v[178:179], v[4:5]
	v_fma_f64 v[62:63], v[176:177], v[6:7], -v[0:1]
	s_wait_dscnt 0x0
	v_mul_f64_e32 v[0:1], v[174:175], v[10:11]
	s_delay_alu instid0(VALU_DEP_1) | instskip(SKIP_2) | instid1(VALU_DEP_2)
	v_fma_f64 v[64:65], v[172:173], v[8:9], v[0:1]
	v_mul_f64_e32 v[0:1], v[174:175], v[8:9]
	v_add_f64_e32 v[8:9], v[12:13], v[16:17]
	v_fma_f64 v[66:67], v[172:173], v[10:11], -v[0:1]
	ds_load_b128 v[0:3], v232
	ds_load_b128 v[4:7], v232 offset:1008
	s_wait_dscnt 0x1
	v_fma_f64 v[10:11], v[8:9], -0.5, v[0:1]
	v_add_f64_e32 v[8:9], v[14:15], v[18:19]
	v_add_f64_e32 v[0:1], v[0:1], v[12:13]
	s_delay_alu instid0(VALU_DEP_2) | instskip(SKIP_2) | instid1(VALU_DEP_4)
	v_fma_f64 v[48:49], v[8:9], -0.5, v[2:3]
	v_add_f64_e32 v[2:3], v[2:3], v[14:15]
	v_add_f64_e64 v[14:15], v[14:15], -v[18:19]
	v_add_f64_e32 v[0:1], v[0:1], v[16:17]
	v_add_f64_e64 v[16:17], v[12:13], -v[16:17]
	s_delay_alu instid0(VALU_DEP_4) | instskip(NEXT) | instid1(VALU_DEP_4)
	v_add_f64_e32 v[2:3], v[2:3], v[18:19]
	v_fma_f64 v[8:9], v[14:15], s[0:1], v[10:11]
	v_fma_f64 v[12:13], v[14:15], s[8:9], v[10:11]
	s_delay_alu instid0(VALU_DEP_4)
	v_fma_f64 v[10:11], v[16:17], s[8:9], v[48:49]
	v_fma_f64 v[14:15], v[16:17], s[0:1], v[48:49]
	ds_load_b128 v[48:51], v232 offset:2016
	ds_load_b128 v[56:59], v232 offset:3024
	global_wb scope:SCOPE_SE
	s_wait_dscnt 0x0
	s_barrier_signal -1
	s_barrier_wait -1
	global_inv scope:SCOPE_SE
	scratch_load_b32 v16, off, off offset:256 th:TH_LOAD_LU ; 4-byte Folded Reload
	s_wait_loadcnt 0x0
	ds_store_b128 v16, v[0:3]
	ds_store_b128 v16, v[8:11] offset:576
	ds_store_b128 v16, v[12:15] offset:1152
	v_add_f64_e32 v[0:1], v[20:21], v[24:25]
	v_add_f64_e64 v[12:13], v[20:21], -v[24:25]
	s_delay_alu instid0(VALU_DEP_2) | instskip(SKIP_3) | instid1(VALU_DEP_3)
	v_fma_f64 v[8:9], v[0:1], -0.5, v[4:5]
	v_add_f64_e32 v[0:1], v[22:23], v[26:27]
	v_add_f64_e32 v[4:5], v[4:5], v[20:21]
	;; [unrolled: 1-line block ×3, first 2 shown]
	v_fma_f64 v[10:11], v[0:1], -0.5, v[6:7]
	v_add_f64_e32 v[0:1], v[6:7], v[22:23]
	v_add_f64_e64 v[6:7], v[22:23], -v[26:27]
	v_add_f64_e64 v[22:23], v[30:31], -v[34:35]
	s_delay_alu instid0(VALU_DEP_3) | instskip(SKIP_1) | instid1(VALU_DEP_4)
	v_add_f64_e32 v[2:3], v[0:1], v[26:27]
	v_add_f64_e32 v[0:1], v[4:5], v[24:25]
	v_fma_f64 v[4:5], v[6:7], s[0:1], v[8:9]
	v_fma_f64 v[8:9], v[6:7], s[8:9], v[8:9]
	;; [unrolled: 1-line block ×4, first 2 shown]
	v_add_f64_e32 v[12:13], v[28:29], v[32:33]
	v_add_f64_e64 v[24:25], v[62:63], -v[66:67]
	s_delay_alu instid0(VALU_DEP_2) | instskip(SKIP_1) | instid1(VALU_DEP_2)
	v_fma_f64 v[16:17], v[12:13], -0.5, v[48:49]
	v_add_f64_e32 v[12:13], v[30:31], v[34:35]
	v_fma_f64 v[48:49], v[22:23], s[0:1], v[16:17]
	s_delay_alu instid0(VALU_DEP_2) | instskip(SKIP_4) | instid1(VALU_DEP_4)
	v_fma_f64 v[18:19], v[12:13], -0.5, v[50:51]
	v_add_f64_e32 v[12:13], v[50:51], v[30:31]
	v_fma_f64 v[52:53], v[22:23], s[8:9], v[16:17]
	v_add_f64_e32 v[16:17], v[60:61], v[64:65]
	v_add_f64_e32 v[22:23], v[56:57], v[60:61]
	v_add_f64_e32 v[14:15], v[12:13], v[34:35]
	v_add_f64_e32 v[12:13], v[20:21], v[32:33]
	v_add_f64_e64 v[20:21], v[28:29], -v[32:33]
	v_fma_f64 v[16:17], v[16:17], -0.5, v[56:57]
	v_add_f64_e32 v[56:57], v[22:23], v[64:65]
	s_delay_alu instid0(VALU_DEP_3) | instskip(SKIP_3) | instid1(VALU_DEP_2)
	v_fma_f64 v[50:51], v[20:21], s[8:9], v[18:19]
	v_fma_f64 v[54:55], v[20:21], s[0:1], v[18:19]
	v_add_f64_e32 v[18:19], v[62:63], v[66:67]
	v_add_f64_e32 v[20:21], v[58:59], v[62:63]
	v_fma_f64 v[18:19], v[18:19], -0.5, v[58:59]
	s_delay_alu instid0(VALU_DEP_2)
	v_add_f64_e32 v[58:59], v[20:21], v[66:67]
	v_add_f64_e64 v[20:21], v[60:61], -v[64:65]
	v_fma_f64 v[60:61], v[24:25], s[0:1], v[16:17]
	v_fma_f64 v[64:65], v[24:25], s[8:9], v[16:17]
	scratch_load_b32 v16, off, off offset:240 th:TH_LOAD_LU ; 4-byte Folded Reload
	s_wait_loadcnt 0x0
	ds_store_b128 v16, v[0:3]
	ds_store_b128 v16, v[4:7] offset:576
	ds_store_b128 v16, v[8:11] offset:1152
	scratch_load_b32 v0, off, off offset:236 th:TH_LOAD_LU ; 4-byte Folded Reload
	v_fma_f64 v[62:63], v[20:21], s[8:9], v[18:19]
	v_fma_f64 v[66:67], v[20:21], s[0:1], v[18:19]
	s_wait_loadcnt 0x0
	ds_store_b128 v0, v[12:15]
	ds_store_b128 v0, v[48:51] offset:576
	ds_store_b128 v0, v[52:55] offset:1152
	scratch_load_b32 v0, off, off offset:252 th:TH_LOAD_LU ; 4-byte Folded Reload
	s_wait_loadcnt 0x0
	ds_store_b128 v0, v[56:59]
	ds_store_b128 v0, v[60:63] offset:576
	ds_store_b128 v0, v[64:67] offset:1152
	global_wb scope:SCOPE_SE
	s_wait_dscnt 0x0
	s_barrier_signal -1
	s_barrier_wait -1
	global_inv scope:SCOPE_SE
	ds_load_b128 v[68:71], v232
	ds_load_b128 v[88:91], v232 offset:1728
	ds_load_b128 v[84:87], v232 offset:3456
	;; [unrolled: 1-line block ×6, first 2 shown]
	s_and_saveexec_b32 s0, vcc_lo
	s_cbranch_execz .LBB0_7
; %bb.6:
	ds_load_b128 v[48:51], v232 offset:1008
	ds_load_b128 v[52:55], v232 offset:2736
	;; [unrolled: 1-line block ×7, first 2 shown]
.LBB0_7:
	s_wait_alu 0xfffe
	s_or_b32 exec_lo, exec_lo, s0
	s_wait_dscnt 0x5
	v_mul_f64_e32 v[0:1], v[182:183], v[90:91]
	v_mul_f64_e32 v[2:3], v[182:183], v[88:89]
	s_wait_dscnt 0x4
	v_mul_f64_e32 v[4:5], v[186:187], v[86:87]
	v_mul_f64_e32 v[6:7], v[186:187], v[84:85]
	;; [unrolled: 3-line block ×3, first 2 shown]
	v_mul_f64_e32 v[12:13], v[194:195], v[82:83]
	v_mul_f64_e32 v[14:15], v[194:195], v[80:81]
	;; [unrolled: 1-line block ×6, first 2 shown]
	s_mov_b32 s8, 0x37e14327
	s_mov_b32 s12, 0xe976ee23
	;; [unrolled: 1-line block ×16, first 2 shown]
	s_wait_alu 0xfffe
	s_mov_b32 s18, s14
	s_mov_b32 s22, s20
	s_mov_b32 s24, 0x37c3f68c
	s_mov_b32 s25, 0xbfdc38aa
	v_fma_f64 v[0:1], v[180:181], v[88:89], v[0:1]
	v_fma_f64 v[2:3], v[180:181], v[90:91], -v[2:3]
	v_fma_f64 v[4:5], v[184:185], v[84:85], v[4:5]
	v_fma_f64 v[6:7], v[184:185], v[86:87], -v[6:7]
	v_fma_f64 v[8:9], v[188:189], v[92:93], v[8:9]
	v_fma_f64 v[10:11], v[188:189], v[94:95], -v[10:11]
	v_fma_f64 v[12:13], v[192:193], v[80:81], v[12:13]
	v_fma_f64 v[14:15], v[192:193], v[82:83], -v[14:15]
	v_fma_f64 v[16:17], v[196:197], v[76:77], v[16:17]
	v_fma_f64 v[18:19], v[196:197], v[78:79], -v[18:19]
	v_fma_f64 v[20:21], v[200:201], v[72:73], v[20:21]
	v_fma_f64 v[22:23], v[200:201], v[74:75], -v[22:23]
	v_add_f64_e32 v[24:25], v[0:1], v[8:9]
	v_add_f64_e32 v[26:27], v[2:3], v[10:11]
	;; [unrolled: 1-line block ×4, first 2 shown]
	v_add_f64_e64 v[4:5], v[4:5], -v[12:13]
	v_add_f64_e64 v[6:7], v[6:7], -v[14:15]
	v_add_f64_e32 v[12:13], v[16:17], v[20:21]
	v_add_f64_e32 v[14:15], v[18:19], v[22:23]
	v_add_f64_e64 v[16:17], v[20:21], -v[16:17]
	v_add_f64_e64 v[18:19], v[22:23], -v[18:19]
	;; [unrolled: 1-line block ×4, first 2 shown]
	v_add_f64_e32 v[0:1], v[28:29], v[24:25]
	v_add_f64_e32 v[2:3], v[30:31], v[26:27]
	v_add_f64_e64 v[20:21], v[24:25], -v[12:13]
	v_add_f64_e64 v[22:23], v[26:27], -v[14:15]
	v_add_f64_e64 v[32:33], v[16:17], -v[4:5]
	v_add_f64_e64 v[34:35], v[18:19], -v[6:7]
	v_add_f64_e64 v[72:73], v[4:5], -v[8:9]
	v_add_f64_e64 v[74:75], v[6:7], -v[10:11]
	v_add_f64_e32 v[4:5], v[16:17], v[4:5]
	v_add_f64_e32 v[6:7], v[18:19], v[6:7]
	v_add_f64_e64 v[16:17], v[8:9], -v[16:17]
	v_add_f64_e64 v[18:19], v[10:11], -v[18:19]
	;; [unrolled: 1-line block ×4, first 2 shown]
	v_add_f64_e32 v[76:77], v[12:13], v[0:1]
	v_add_f64_e32 v[78:79], v[14:15], v[2:3]
	v_add_f64_e64 v[12:13], v[12:13], -v[28:29]
	v_add_f64_e64 v[14:15], v[14:15], -v[30:31]
	v_mul_f64_e32 v[20:21], s[8:9], v[20:21]
	v_mul_f64_e32 v[22:23], s[8:9], v[22:23]
	;; [unrolled: 1-line block ×6, first 2 shown]
	v_add_f64_e32 v[4:5], v[4:5], v[8:9]
	v_add_f64_e32 v[6:7], v[6:7], v[10:11]
	v_add_f64_e32 v[0:1], v[68:69], v[76:77]
	v_add_f64_e32 v[2:3], v[70:71], v[78:79]
	v_mul_f64_e32 v[28:29], s[16:17], v[12:13]
	v_mul_f64_e32 v[30:31], s[16:17], v[14:15]
	v_fma_f64 v[8:9], v[12:13], s[16:17], v[20:21]
	v_fma_f64 v[10:11], v[14:15], s[16:17], v[22:23]
	;; [unrolled: 1-line block ×4, first 2 shown]
	s_wait_alu 0xfffe
	v_fma_f64 v[16:17], v[16:17], s[22:23], -v[80:81]
	v_fma_f64 v[18:19], v[18:19], s[22:23], -v[82:83]
	;; [unrolled: 1-line block ×6, first 2 shown]
	v_fma_f64 v[68:69], v[76:77], s[10:11], v[0:1]
	v_fma_f64 v[70:71], v[78:79], s[10:11], v[2:3]
	v_fma_f64 v[24:25], v[24:25], s[14:15], -v[28:29]
	v_fma_f64 v[26:27], v[26:27], s[14:15], -v[30:31]
	v_fma_f64 v[28:29], v[4:5], s[24:25], v[12:13]
	v_fma_f64 v[30:31], v[6:7], s[24:25], v[14:15]
	;; [unrolled: 1-line block ×6, first 2 shown]
	v_add_f64_e32 v[76:77], v[8:9], v[68:69]
	v_add_f64_e32 v[78:79], v[10:11], v[70:71]
	;; [unrolled: 1-line block ×7, first 2 shown]
	v_add_f64_e64 v[6:7], v[78:79], -v[28:29]
	v_add_f64_e32 v[8:9], v[18:19], v[20:21]
	v_add_f64_e64 v[10:11], v[22:23], -v[16:17]
	v_add_f64_e64 v[12:13], v[24:25], -v[34:35]
	v_add_f64_e32 v[14:15], v[32:33], v[26:27]
	v_add_f64_e32 v[68:69], v[34:35], v[24:25]
	v_add_f64_e64 v[70:71], v[26:27], -v[32:33]
	v_add_f64_e64 v[72:73], v[20:21], -v[18:19]
	v_add_f64_e32 v[74:75], v[16:17], v[22:23]
	v_add_f64_e64 v[76:77], v[76:77], -v[30:31]
	v_add_f64_e32 v[78:79], v[28:29], v[78:79]
	ds_store_b128 v232, v[0:3]
	ds_store_b128 v232, v[4:7] offset:1728
	ds_store_b128 v232, v[8:11] offset:3456
	;; [unrolled: 1-line block ×6, first 2 shown]
	s_and_saveexec_b32 s26, vcc_lo
	s_cbranch_execz .LBB0_9
; %bb.8:
	v_mul_f64_e32 v[0:1], v[158:159], v[208:209]
	v_mul_f64_e32 v[2:3], v[146:147], v[52:53]
	;; [unrolled: 1-line block ×12, first 2 shown]
	v_fma_f64 v[0:1], v[156:157], v[210:211], -v[0:1]
	v_fma_f64 v[2:3], v[144:145], v[54:55], -v[2:3]
	;; [unrolled: 1-line block ×4, first 2 shown]
	v_fma_f64 v[8:9], v[144:145], v[52:53], v[8:9]
	v_fma_f64 v[10:11], v[156:157], v[208:209], v[10:11]
	;; [unrolled: 1-line block ×6, first 2 shown]
	v_fma_f64 v[20:21], v[164:165], v[62:63], -v[20:21]
	v_fma_f64 v[22:23], v[168:169], v[66:67], -v[22:23]
	v_add_f64_e32 v[24:25], v[2:3], v[0:1]
	v_add_f64_e32 v[26:27], v[6:7], v[4:5]
	v_add_f64_e64 v[4:5], v[6:7], -v[4:5]
	v_add_f64_e32 v[28:29], v[8:9], v[10:11]
	v_add_f64_e64 v[8:9], v[8:9], -v[10:11]
	v_add_f64_e32 v[30:31], v[12:13], v[14:15]
	v_add_f64_e64 v[12:13], v[12:13], -v[14:15]
	v_add_f64_e64 v[32:33], v[16:17], -v[18:19]
	v_add_f64_e32 v[16:17], v[18:19], v[16:17]
	v_add_f64_e32 v[14:15], v[20:21], v[22:23]
	v_add_f64_e64 v[18:19], v[22:23], -v[20:21]
	v_add_f64_e64 v[6:7], v[2:3], -v[0:1]
	v_add_f64_e32 v[10:11], v[26:27], v[24:25]
	v_add_f64_e32 v[0:1], v[30:31], v[28:29]
	v_add_f64_e64 v[34:35], v[12:13], -v[8:9]
	v_add_f64_e64 v[2:3], v[32:33], -v[12:13]
	;; [unrolled: 1-line block ×7, first 2 shown]
	v_add_f64_e32 v[12:13], v[32:33], v[12:13]
	v_add_f64_e32 v[4:5], v[18:19], v[4:5]
	v_add_f64_e64 v[18:19], v[6:7], -v[18:19]
	v_add_f64_e64 v[24:25], v[26:27], -v[24:25]
	;; [unrolled: 1-line block ×3, first 2 shown]
	v_add_f64_e32 v[10:11], v[14:15], v[10:11]
	v_add_f64_e64 v[14:15], v[14:15], -v[26:27]
	v_add_f64_e32 v[56:57], v[16:17], v[0:1]
	v_add_f64_e64 v[16:17], v[16:17], -v[30:31]
	v_mul_f64_e32 v[32:33], s[12:13], v[2:3]
	v_mul_f64_e32 v[22:23], s[8:9], v[22:23]
	;; [unrolled: 1-line block ×4, first 2 shown]
	v_add_f64_e32 v[8:9], v[12:13], v[8:9]
	v_add_f64_e32 v[4:5], v[4:5], v[6:7]
	;; [unrolled: 1-line block ×3, first 2 shown]
	v_mul_f64_e32 v[26:27], s[16:17], v[14:15]
	v_mul_f64_e32 v[50:51], s[12:13], v[52:53]
	;; [unrolled: 1-line block ×3, first 2 shown]
	v_add_f64_e32 v[0:1], v[48:49], v[56:57]
	v_mul_f64_e32 v[30:31], s[16:17], v[16:17]
	v_fma_f64 v[6:7], v[58:59], s[20:21], v[32:33]
	v_fma_f64 v[32:33], v[34:35], s[0:1], -v[32:33]
	v_fma_f64 v[12:13], v[14:15], s[16:17], v[20:21]
	v_fma_f64 v[14:15], v[16:17], s[16:17], v[22:23]
	v_fma_f64 v[16:17], v[58:59], s[22:23], -v[60:61]
	v_fma_f64 v[20:21], v[24:25], s[18:19], -v[20:21]
	;; [unrolled: 1-line block ×3, first 2 shown]
	v_fma_f64 v[10:11], v[10:11], s[10:11], v[2:3]
	v_fma_f64 v[24:25], v[24:25], s[14:15], -v[26:27]
	v_fma_f64 v[26:27], v[18:19], s[20:21], v[50:51]
	v_fma_f64 v[18:19], v[18:19], s[22:23], -v[52:53]
	v_fma_f64 v[48:49], v[56:57], s[10:11], v[0:1]
	v_fma_f64 v[34:35], v[54:55], s[0:1], -v[50:51]
	v_fma_f64 v[28:29], v[28:29], s[14:15], -v[30:31]
	v_fma_f64 v[30:31], v[8:9], s[24:25], v[6:7]
	v_fma_f64 v[16:17], v[8:9], s[24:25], v[16:17]
	;; [unrolled: 1-line block ×3, first 2 shown]
	v_add_f64_e32 v[12:13], v[12:13], v[10:11]
	v_add_f64_e32 v[20:21], v[20:21], v[10:11]
	v_fma_f64 v[26:27], v[4:5], s[24:25], v[26:27]
	v_fma_f64 v[18:19], v[4:5], s[24:25], v[18:19]
	v_add_f64_e32 v[32:33], v[14:15], v[48:49]
	v_add_f64_e32 v[22:23], v[22:23], v[48:49]
	;; [unrolled: 1-line block ×3, first 2 shown]
	v_fma_f64 v[4:5], v[4:5], s[24:25], v[34:35]
	v_add_f64_e32 v[28:29], v[28:29], v[48:49]
	v_add_f64_e64 v[58:59], v[12:13], -v[30:31]
	v_add_f64_e64 v[54:55], v[20:21], -v[16:17]
	v_add_f64_e32 v[6:7], v[30:31], v[12:13]
	v_add_f64_e32 v[10:11], v[16:17], v[20:21]
	;; [unrolled: 1-line block ×5, first 2 shown]
	v_add_f64_e64 v[14:15], v[24:25], -v[8:9]
	v_add_f64_e64 v[48:49], v[28:29], -v[4:5]
	v_add_f64_e32 v[12:13], v[4:5], v[28:29]
	v_add_f64_e64 v[8:9], v[22:23], -v[18:19]
	v_add_f64_e64 v[4:5], v[32:33], -v[26:27]
	ds_store_b128 v232, v[0:3] offset:1008
	ds_store_b128 v232, v[56:59] offset:2736
	ds_store_b128 v232, v[52:55] offset:4464
	ds_store_b128 v232, v[48:51] offset:6192
	ds_store_b128 v232, v[12:15] offset:7920
	ds_store_b128 v232, v[8:11] offset:9648
	ds_store_b128 v232, v[4:7] offset:11376
.LBB0_9:
	s_wait_alu 0xfffe
	s_or_b32 exec_lo, exec_lo, s26
	global_wb scope:SCOPE_SE
	s_wait_dscnt 0x0
	s_barrier_signal -1
	s_barrier_wait -1
	global_inv scope:SCOPE_SE
	ds_load_b128 v[0:3], v232
	ds_load_b128 v[4:7], v232 offset:6048
	ds_load_b128 v[8:11], v232 offset:1008
	s_clause 0x1
	scratch_load_b64 v[12:13], off, off th:TH_LOAD_LU
	scratch_load_b128 v[108:111], off, off offset:8 th:TH_LOAD_LU
	v_mad_co_u64_u32 v[18:19], null, s4, v255, 0
	s_mov_b32 s0, 0x6b015ac0
	s_mov_b32 s1, 0x3f55ac05
	s_mul_u64 s[8:9], s[4:5], 0x17a0
	ds_load_b128 v[48:51], v232 offset:2016
	s_wait_loadcnt 0x1
	v_mov_b32_e32 v84, v12
	ds_load_b128 v[12:15], v232 offset:7056
	s_wait_loadcnt_dscnt 0x4
	v_mul_f64_e32 v[20:21], v[110:111], v[2:3]
	v_mul_f64_e32 v[22:23], v[110:111], v[0:1]
	ds_load_b128 v[52:55], v232 offset:3024
	ds_load_b128 v[56:59], v232 offset:8064
	;; [unrolled: 1-line block ×3, first 2 shown]
	scratch_load_b128 v[110:113], off, off offset:24 th:TH_LOAD_LU ; 16-byte Folded Reload
	v_mad_co_u64_u32 v[16:17], null, s6, v84, 0
	s_delay_alu instid0(VALU_DEP_1) | instskip(SKIP_2) | instid1(VALU_DEP_1)
	v_mad_co_u64_u32 v[84:85], null, s7, v84, v[17:18]
	s_movk_i32 s6, 0xec50
	s_mov_b32 s7, -1
	v_mov_b32_e32 v17, v84
	s_delay_alu instid0(VALU_DEP_1) | instskip(SKIP_3) | instid1(VALU_DEP_4)
	v_lshlrev_b64_e32 v[16:17], 4, v[16:17]
	v_mad_co_u64_u32 v[85:86], null, s5, v255, v[19:20]
	v_fma_f64 v[0:1], v[108:109], v[0:1], v[20:21]
	v_fma_f64 v[2:3], v[108:109], v[2:3], -v[22:23]
	v_add_co_u32 v22, vcc_lo, s2, v16
	s_wait_alu 0xfffd
	v_add_co_ci_u32_e32 v23, vcc_lo, s3, v17, vcc_lo
	v_mov_b32_e32 v19, v85
	s_wait_alu 0xfffe
	s_mul_u64 s[4:5], s[4:5], s[6:7]
	s_delay_alu instid0(VALU_DEP_1)
	v_lshlrev_b64_e32 v[18:19], 4, v[18:19]
	v_mul_f64_e32 v[0:1], s[0:1], v[0:1]
	v_mul_f64_e32 v[2:3], s[0:1], v[2:3]
	s_wait_loadcnt_dscnt 0x6
	v_mul_f64_e32 v[24:25], v[112:113], v[6:7]
	v_mul_f64_e32 v[26:27], v[112:113], v[4:5]
	scratch_load_b128 v[112:115], off, off offset:40 th:TH_LOAD_LU ; 16-byte Folded Reload
	ds_load_b128 v[64:67], v232 offset:4032
	ds_load_b128 v[68:71], v232 offset:5040
	;; [unrolled: 1-line block ×4, first 2 shown]
	scratch_load_b128 v[122:125], off, off offset:104 th:TH_LOAD_LU ; 16-byte Folded Reload
	s_wait_dscnt 0x2
	v_mul_f64_e32 v[104:105], v[38:39], v[70:71]
	s_wait_dscnt 0x1
	v_mul_f64_e32 v[102:103], v[42:43], v[74:75]
	v_mul_f64_e32 v[42:43], v[42:43], v[72:73]
	;; [unrolled: 1-line block ×3, first 2 shown]
	s_wait_dscnt 0x0
	v_mul_f64_e32 v[106:107], v[46:47], v[78:79]
	v_mul_f64_e32 v[46:47], v[46:47], v[76:77]
	v_fma_f64 v[4:5], v[110:111], v[4:5], v[24:25]
	v_fma_f64 v[6:7], v[110:111], v[6:7], -v[26:27]
	s_delay_alu instid0(VALU_DEP_3) | instskip(NEXT) | instid1(VALU_DEP_3)
	v_fma_f64 v[46:47], v[44:45], v[78:79], -v[46:47]
	v_mul_f64_e32 v[4:5], s[0:1], v[4:5]
	s_delay_alu instid0(VALU_DEP_3) | instskip(NEXT) | instid1(VALU_DEP_3)
	v_mul_f64_e32 v[6:7], s[0:1], v[6:7]
	v_mul_f64_e32 v[46:47], s[0:1], v[46:47]
	s_wait_loadcnt 0x1
	v_mul_f64_e32 v[28:29], v[114:115], v[10:11]
	v_mul_f64_e32 v[30:31], v[114:115], v[8:9]
	scratch_load_b128 v[114:117], off, off offset:56 th:TH_LOAD_LU ; 16-byte Folded Reload
	s_wait_loadcnt 0x1
	v_mul_f64_e32 v[86:87], v[124:125], v[58:59]
	v_mul_f64_e32 v[88:89], v[124:125], v[56:57]
	scratch_load_b128 v[124:127], off, off offset:120 th:TH_LOAD_LU ; 16-byte Folded Reload
	v_fma_f64 v[8:9], v[112:113], v[8:9], v[28:29]
	v_fma_f64 v[10:11], v[112:113], v[10:11], -v[30:31]
	v_fma_f64 v[24:25], v[122:123], v[58:59], -v[88:89]
	s_delay_alu instid0(VALU_DEP_3) | instskip(NEXT) | instid1(VALU_DEP_3)
	v_mul_f64_e32 v[8:9], s[0:1], v[8:9]
	v_mul_f64_e32 v[10:11], s[0:1], v[10:11]
	s_wait_loadcnt 0x1
	v_mul_f64_e32 v[32:33], v[116:117], v[14:15]
	v_mul_f64_e32 v[34:35], v[116:117], v[12:13]
	scratch_load_b128 v[116:119], off, off offset:72 th:TH_LOAD_LU ; 16-byte Folded Reload
	s_wait_loadcnt 0x1
	v_mul_f64_e32 v[94:95], v[126:127], v[62:63]
	v_mul_f64_e32 v[96:97], v[126:127], v[60:61]
	scratch_load_b128 v[126:129], off, off offset:136 th:TH_LOAD_LU ; 16-byte Folded Reload
	v_fma_f64 v[12:13], v[114:115], v[12:13], v[32:33]
	v_fma_f64 v[14:15], v[114:115], v[14:15], -v[34:35]
	v_fma_f64 v[30:31], v[124:125], v[60:61], v[94:95]
	v_fma_f64 v[32:33], v[124:125], v[62:63], -v[96:97]
	s_delay_alu instid0(VALU_DEP_4) | instskip(NEXT) | instid1(VALU_DEP_4)
	v_mul_f64_e32 v[12:13], s[0:1], v[12:13]
	v_mul_f64_e32 v[14:15], s[0:1], v[14:15]
	s_wait_loadcnt 0x1
	v_mul_f64_e32 v[80:81], v[118:119], v[50:51]
	v_mul_f64_e32 v[82:83], v[118:119], v[48:49]
	scratch_load_b128 v[118:121], off, off offset:88 th:TH_LOAD_LU ; 16-byte Folded Reload
	s_wait_loadcnt 0x1
	v_mul_f64_e32 v[98:99], v[128:129], v[66:67]
	v_mul_f64_e32 v[100:101], v[128:129], v[64:65]
	v_fma_f64 v[16:17], v[116:117], v[48:49], v[80:81]
	v_add_co_u32 v48, vcc_lo, v22, v18
	v_fma_f64 v[20:21], v[116:117], v[50:51], -v[82:83]
	s_wait_alu 0xfffd
	v_add_co_ci_u32_e32 v49, vcc_lo, v23, v19, vcc_lo
	v_fma_f64 v[22:23], v[122:123], v[56:57], v[86:87]
	v_fma_f64 v[56:57], v[44:45], v[76:77], v[106:107]
	v_add_co_u32 v58, vcc_lo, v48, s8
	s_wait_alu 0xfffd
	v_add_co_ci_u32_e32 v59, vcc_lo, s9, v49, vcc_lo
	global_store_b128 v[48:49], v[0:3], off
	s_wait_alu 0xfffe
	v_add_co_u32 v60, vcc_lo, v58, s4
	s_wait_alu 0xfffd
	v_add_co_ci_u32_e32 v61, vcc_lo, s5, v59, vcc_lo
	global_store_b128 v[58:59], v[4:7], off
	v_add_co_u32 v62, vcc_lo, v60, s8
	s_wait_alu 0xfffd
	v_add_co_ci_u32_e32 v63, vcc_lo, s9, v61, vcc_lo
	global_store_b128 v[60:61], v[8:11], off
	v_fma_f64 v[34:35], v[126:127], v[64:65], v[98:99]
	v_fma_f64 v[50:51], v[126:127], v[66:67], -v[100:101]
	v_add_co_u32 v64, vcc_lo, v62, s4
	global_store_b128 v[62:63], v[12:15], off
	s_wait_alu 0xfffd
	v_add_co_ci_u32_e32 v65, vcc_lo, s5, v63, vcc_lo
	v_add_co_u32 v0, vcc_lo, v64, s8
	s_wait_alu 0xfffd
	s_delay_alu instid0(VALU_DEP_2) | instskip(NEXT) | instid1(VALU_DEP_2)
	v_add_co_ci_u32_e32 v1, vcc_lo, s9, v65, vcc_lo
	v_add_co_u32 v2, vcc_lo, v0, s4
	v_mul_f64_e32 v[16:17], s[0:1], v[16:17]
	s_wait_alu 0xfffd
	s_delay_alu instid0(VALU_DEP_3)
	v_add_co_ci_u32_e32 v3, vcc_lo, s5, v1, vcc_lo
	v_mul_f64_e32 v[18:19], s[0:1], v[20:21]
	v_add_co_u32 v4, vcc_lo, v2, s8
	v_mul_f64_e32 v[20:21], s[0:1], v[22:23]
	v_mul_f64_e32 v[22:23], s[0:1], v[24:25]
	;; [unrolled: 1-line block ×3, first 2 shown]
	s_wait_alu 0xfffd
	v_add_co_ci_u32_e32 v5, vcc_lo, s9, v3, vcc_lo
	v_add_co_u32 v6, vcc_lo, v4, s4
	s_wait_alu 0xfffd
	s_delay_alu instid0(VALU_DEP_2) | instskip(NEXT) | instid1(VALU_DEP_2)
	v_add_co_ci_u32_e32 v7, vcc_lo, s5, v5, vcc_lo
	v_add_co_u32 v8, vcc_lo, v6, s8
	s_wait_alu 0xfffd
	s_delay_alu instid0(VALU_DEP_2)
	v_add_co_ci_u32_e32 v9, vcc_lo, s9, v7, vcc_lo
	global_store_b128 v[64:65], v[16:19], off
	global_store_b128 v[0:1], v[20:23], off
	v_add_co_u32 v0, vcc_lo, v8, s4
	s_wait_alu 0xfffd
	v_add_co_ci_u32_e32 v1, vcc_lo, s5, v9, vcc_lo
	s_wait_loadcnt 0x0
	v_mul_f64_e32 v[90:91], v[120:121], v[54:55]
	v_mul_f64_e32 v[92:93], v[120:121], v[52:53]
	s_delay_alu instid0(VALU_DEP_2) | instskip(NEXT) | instid1(VALU_DEP_2)
	v_fma_f64 v[26:27], v[118:119], v[52:53], v[90:91]
	v_fma_f64 v[28:29], v[118:119], v[54:55], -v[92:93]
	v_fma_f64 v[52:53], v[40:41], v[72:73], v[102:103]
	v_fma_f64 v[40:41], v[40:41], v[74:75], -v[42:43]
	;; [unrolled: 2-line block ×3, first 2 shown]
	v_mul_f64_e32 v[24:25], s[0:1], v[26:27]
	v_mul_f64_e32 v[26:27], s[0:1], v[28:29]
	;; [unrolled: 1-line block ×10, first 2 shown]
	global_store_b128 v[2:3], v[24:27], off
	v_add_co_u32 v2, vcc_lo, v0, s8
	s_wait_alu 0xfffd
	v_add_co_ci_u32_e32 v3, vcc_lo, s9, v1, vcc_lo
	global_store_b128 v[4:5], v[28:31], off
	global_store_b128 v[6:7], v[32:35], off
	;; [unrolled: 1-line block ×5, first 2 shown]
.LBB0_10:
	s_nop 0
	s_sendmsg sendmsg(MSG_DEALLOC_VGPRS)
	s_endpgm
	.section	.rodata,"a",@progbits
	.p2align	6, 0x0
	.amdhsa_kernel bluestein_single_back_len756_dim1_dp_op_CI_CI
		.amdhsa_group_segment_fixed_size 12096
		.amdhsa_private_segment_fixed_size 264
		.amdhsa_kernarg_size 104
		.amdhsa_user_sgpr_count 2
		.amdhsa_user_sgpr_dispatch_ptr 0
		.amdhsa_user_sgpr_queue_ptr 0
		.amdhsa_user_sgpr_kernarg_segment_ptr 1
		.amdhsa_user_sgpr_dispatch_id 0
		.amdhsa_user_sgpr_private_segment_size 0
		.amdhsa_wavefront_size32 1
		.amdhsa_uses_dynamic_stack 0
		.amdhsa_enable_private_segment 1
		.amdhsa_system_sgpr_workgroup_id_x 1
		.amdhsa_system_sgpr_workgroup_id_y 0
		.amdhsa_system_sgpr_workgroup_id_z 0
		.amdhsa_system_sgpr_workgroup_info 0
		.amdhsa_system_vgpr_workitem_id 0
		.amdhsa_next_free_vgpr 256
		.amdhsa_next_free_sgpr 28
		.amdhsa_reserve_vcc 1
		.amdhsa_float_round_mode_32 0
		.amdhsa_float_round_mode_16_64 0
		.amdhsa_float_denorm_mode_32 3
		.amdhsa_float_denorm_mode_16_64 3
		.amdhsa_fp16_overflow 0
		.amdhsa_workgroup_processor_mode 1
		.amdhsa_memory_ordered 1
		.amdhsa_forward_progress 0
		.amdhsa_round_robin_scheduling 0
		.amdhsa_exception_fp_ieee_invalid_op 0
		.amdhsa_exception_fp_denorm_src 0
		.amdhsa_exception_fp_ieee_div_zero 0
		.amdhsa_exception_fp_ieee_overflow 0
		.amdhsa_exception_fp_ieee_underflow 0
		.amdhsa_exception_fp_ieee_inexact 0
		.amdhsa_exception_int_div_zero 0
	.end_amdhsa_kernel
	.text
.Lfunc_end0:
	.size	bluestein_single_back_len756_dim1_dp_op_CI_CI, .Lfunc_end0-bluestein_single_back_len756_dim1_dp_op_CI_CI
                                        ; -- End function
	.section	.AMDGPU.csdata,"",@progbits
; Kernel info:
; codeLenInByte = 17036
; NumSgprs: 30
; NumVgprs: 256
; ScratchSize: 264
; MemoryBound: 0
; FloatMode: 240
; IeeeMode: 1
; LDSByteSize: 12096 bytes/workgroup (compile time only)
; SGPRBlocks: 3
; VGPRBlocks: 31
; NumSGPRsForWavesPerEU: 30
; NumVGPRsForWavesPerEU: 256
; Occupancy: 5
; WaveLimiterHint : 1
; COMPUTE_PGM_RSRC2:SCRATCH_EN: 1
; COMPUTE_PGM_RSRC2:USER_SGPR: 2
; COMPUTE_PGM_RSRC2:TRAP_HANDLER: 0
; COMPUTE_PGM_RSRC2:TGID_X_EN: 1
; COMPUTE_PGM_RSRC2:TGID_Y_EN: 0
; COMPUTE_PGM_RSRC2:TGID_Z_EN: 0
; COMPUTE_PGM_RSRC2:TIDIG_COMP_CNT: 0
	.text
	.p2alignl 7, 3214868480
	.fill 96, 4, 3214868480
	.type	__hip_cuid_eeee16728ed93ca,@object ; @__hip_cuid_eeee16728ed93ca
	.section	.bss,"aw",@nobits
	.globl	__hip_cuid_eeee16728ed93ca
__hip_cuid_eeee16728ed93ca:
	.byte	0                               ; 0x0
	.size	__hip_cuid_eeee16728ed93ca, 1

	.ident	"AMD clang version 19.0.0git (https://github.com/RadeonOpenCompute/llvm-project roc-6.4.0 25133 c7fe45cf4b819c5991fe208aaa96edf142730f1d)"
	.section	".note.GNU-stack","",@progbits
	.addrsig
	.addrsig_sym __hip_cuid_eeee16728ed93ca
	.amdgpu_metadata
---
amdhsa.kernels:
  - .args:
      - .actual_access:  read_only
        .address_space:  global
        .offset:         0
        .size:           8
        .value_kind:     global_buffer
      - .actual_access:  read_only
        .address_space:  global
        .offset:         8
        .size:           8
        .value_kind:     global_buffer
      - .actual_access:  read_only
        .address_space:  global
        .offset:         16
        .size:           8
        .value_kind:     global_buffer
      - .actual_access:  read_only
        .address_space:  global
        .offset:         24
        .size:           8
        .value_kind:     global_buffer
      - .actual_access:  read_only
        .address_space:  global
        .offset:         32
        .size:           8
        .value_kind:     global_buffer
      - .offset:         40
        .size:           8
        .value_kind:     by_value
      - .address_space:  global
        .offset:         48
        .size:           8
        .value_kind:     global_buffer
      - .address_space:  global
        .offset:         56
        .size:           8
        .value_kind:     global_buffer
      - .address_space:  global
        .offset:         64
        .size:           8
        .value_kind:     global_buffer
      - .address_space:  global
        .offset:         72
        .size:           8
        .value_kind:     global_buffer
      - .offset:         80
        .size:           4
        .value_kind:     by_value
      - .address_space:  global
        .offset:         88
        .size:           8
        .value_kind:     global_buffer
      - .address_space:  global
        .offset:         96
        .size:           8
        .value_kind:     global_buffer
    .group_segment_fixed_size: 12096
    .kernarg_segment_align: 8
    .kernarg_segment_size: 104
    .language:       OpenCL C
    .language_version:
      - 2
      - 0
    .max_flat_workgroup_size: 63
    .name:           bluestein_single_back_len756_dim1_dp_op_CI_CI
    .private_segment_fixed_size: 264
    .sgpr_count:     30
    .sgpr_spill_count: 0
    .symbol:         bluestein_single_back_len756_dim1_dp_op_CI_CI.kd
    .uniform_work_group_size: 1
    .uses_dynamic_stack: false
    .vgpr_count:     256
    .vgpr_spill_count: 65
    .wavefront_size: 32
    .workgroup_processor_mode: 1
amdhsa.target:   amdgcn-amd-amdhsa--gfx1201
amdhsa.version:
  - 1
  - 2
...

	.end_amdgpu_metadata
